;; amdgpu-corpus repo=ROCm/rocFFT kind=compiled arch=gfx906 opt=O3
	.text
	.amdgcn_target "amdgcn-amd-amdhsa--gfx906"
	.amdhsa_code_object_version 6
	.protected	fft_rtc_back_len546_factors_13_3_7_2_wgs_117_tpt_39_halfLds_sp_ip_CI_unitstride_sbrr_dirReg ; -- Begin function fft_rtc_back_len546_factors_13_3_7_2_wgs_117_tpt_39_halfLds_sp_ip_CI_unitstride_sbrr_dirReg
	.globl	fft_rtc_back_len546_factors_13_3_7_2_wgs_117_tpt_39_halfLds_sp_ip_CI_unitstride_sbrr_dirReg
	.p2align	8
	.type	fft_rtc_back_len546_factors_13_3_7_2_wgs_117_tpt_39_halfLds_sp_ip_CI_unitstride_sbrr_dirReg,@function
fft_rtc_back_len546_factors_13_3_7_2_wgs_117_tpt_39_halfLds_sp_ip_CI_unitstride_sbrr_dirReg: ; @fft_rtc_back_len546_factors_13_3_7_2_wgs_117_tpt_39_halfLds_sp_ip_CI_unitstride_sbrr_dirReg
; %bb.0:
	v_mul_u32_u24_e32 v1, 0x691, v0
	s_load_dwordx2 s[12:13], s[4:5], 0x50
	s_load_dwordx4 s[8:11], s[4:5], 0x0
	s_load_dwordx2 s[2:3], s[4:5], 0x18
	v_lshrrev_b32_e32 v1, 16, v1
	v_mad_u64_u32 v[56:57], s[0:1], s6, 3, v[1:2]
	v_mov_b32_e32 v3, 0
	s_waitcnt lgkmcnt(0)
	v_cmp_lt_u64_e64 s[0:1], s[10:11], 2
	v_mov_b32_e32 v57, v3
	v_mov_b32_e32 v1, 0
	;; [unrolled: 1-line block ×3, first 2 shown]
	s_and_b64 vcc, exec, s[0:1]
	v_mov_b32_e32 v2, 0
	v_mov_b32_e32 v8, v57
	s_cbranch_vccnz .LBB0_8
; %bb.1:
	s_load_dwordx2 s[0:1], s[4:5], 0x10
	s_add_u32 s6, s2, 8
	s_addc_u32 s7, s3, 0
	v_mov_b32_e32 v1, 0
	v_mov_b32_e32 v5, v56
	s_waitcnt lgkmcnt(0)
	s_add_u32 s16, s0, 8
	s_mov_b64 s[14:15], 1
	v_mov_b32_e32 v2, 0
	s_addc_u32 s17, s1, 0
	v_mov_b32_e32 v6, v57
.LBB0_2:                                ; =>This Inner Loop Header: Depth=1
	s_load_dwordx2 s[18:19], s[16:17], 0x0
                                        ; implicit-def: $vgpr7_vgpr8
	s_waitcnt lgkmcnt(0)
	v_or_b32_e32 v4, s19, v6
	v_cmp_ne_u64_e32 vcc, 0, v[3:4]
	s_and_saveexec_b64 s[0:1], vcc
	s_xor_b64 s[20:21], exec, s[0:1]
	s_cbranch_execz .LBB0_4
; %bb.3:                                ;   in Loop: Header=BB0_2 Depth=1
	v_cvt_f32_u32_e32 v4, s18
	v_cvt_f32_u32_e32 v7, s19
	s_sub_u32 s0, 0, s18
	s_subb_u32 s1, 0, s19
	v_mac_f32_e32 v4, 0x4f800000, v7
	v_rcp_f32_e32 v4, v4
	v_mul_f32_e32 v4, 0x5f7ffffc, v4
	v_mul_f32_e32 v7, 0x2f800000, v4
	v_trunc_f32_e32 v7, v7
	v_mac_f32_e32 v4, 0xcf800000, v7
	v_cvt_u32_f32_e32 v7, v7
	v_cvt_u32_f32_e32 v4, v4
	v_mul_lo_u32 v8, s0, v7
	v_mul_hi_u32 v9, s0, v4
	v_mul_lo_u32 v11, s1, v4
	v_mul_lo_u32 v10, s0, v4
	v_add_u32_e32 v8, v9, v8
	v_add_u32_e32 v8, v8, v11
	v_mul_hi_u32 v9, v4, v10
	v_mul_lo_u32 v11, v4, v8
	v_mul_hi_u32 v13, v4, v8
	v_mul_hi_u32 v12, v7, v10
	v_mul_lo_u32 v10, v7, v10
	v_mul_hi_u32 v14, v7, v8
	v_add_co_u32_e32 v9, vcc, v9, v11
	v_addc_co_u32_e32 v11, vcc, 0, v13, vcc
	v_mul_lo_u32 v8, v7, v8
	v_add_co_u32_e32 v9, vcc, v9, v10
	v_addc_co_u32_e32 v9, vcc, v11, v12, vcc
	v_addc_co_u32_e32 v10, vcc, 0, v14, vcc
	v_add_co_u32_e32 v8, vcc, v9, v8
	v_addc_co_u32_e32 v9, vcc, 0, v10, vcc
	v_add_co_u32_e32 v4, vcc, v4, v8
	v_addc_co_u32_e32 v7, vcc, v7, v9, vcc
	v_mul_lo_u32 v8, s0, v7
	v_mul_hi_u32 v9, s0, v4
	v_mul_lo_u32 v10, s1, v4
	v_mul_lo_u32 v11, s0, v4
	v_add_u32_e32 v8, v9, v8
	v_add_u32_e32 v8, v8, v10
	v_mul_lo_u32 v12, v4, v8
	v_mul_hi_u32 v13, v4, v11
	v_mul_hi_u32 v14, v4, v8
	;; [unrolled: 1-line block ×3, first 2 shown]
	v_mul_lo_u32 v11, v7, v11
	v_mul_hi_u32 v9, v7, v8
	v_add_co_u32_e32 v12, vcc, v13, v12
	v_addc_co_u32_e32 v13, vcc, 0, v14, vcc
	v_mul_lo_u32 v8, v7, v8
	v_add_co_u32_e32 v11, vcc, v12, v11
	v_addc_co_u32_e32 v10, vcc, v13, v10, vcc
	v_addc_co_u32_e32 v9, vcc, 0, v9, vcc
	v_add_co_u32_e32 v8, vcc, v10, v8
	v_addc_co_u32_e32 v9, vcc, 0, v9, vcc
	v_add_co_u32_e32 v4, vcc, v4, v8
	v_addc_co_u32_e32 v9, vcc, v7, v9, vcc
	v_mad_u64_u32 v[7:8], s[0:1], v5, v9, 0
	v_mul_hi_u32 v10, v5, v4
	v_add_co_u32_e32 v11, vcc, v10, v7
	v_addc_co_u32_e32 v12, vcc, 0, v8, vcc
	v_mad_u64_u32 v[7:8], s[0:1], v6, v4, 0
	v_mad_u64_u32 v[9:10], s[0:1], v6, v9, 0
	v_add_co_u32_e32 v4, vcc, v11, v7
	v_addc_co_u32_e32 v4, vcc, v12, v8, vcc
	v_addc_co_u32_e32 v7, vcc, 0, v10, vcc
	v_add_co_u32_e32 v4, vcc, v4, v9
	v_addc_co_u32_e32 v9, vcc, 0, v7, vcc
	v_mul_lo_u32 v10, s19, v4
	v_mul_lo_u32 v11, s18, v9
	v_mad_u64_u32 v[7:8], s[0:1], s18, v4, 0
	v_add3_u32 v8, v8, v11, v10
	v_sub_u32_e32 v10, v6, v8
	v_mov_b32_e32 v11, s19
	v_sub_co_u32_e32 v7, vcc, v5, v7
	v_subb_co_u32_e64 v10, s[0:1], v10, v11, vcc
	v_subrev_co_u32_e64 v11, s[0:1], s18, v7
	v_subbrev_co_u32_e64 v10, s[0:1], 0, v10, s[0:1]
	v_cmp_le_u32_e64 s[0:1], s19, v10
	v_cndmask_b32_e64 v12, 0, -1, s[0:1]
	v_cmp_le_u32_e64 s[0:1], s18, v11
	v_cndmask_b32_e64 v11, 0, -1, s[0:1]
	v_cmp_eq_u32_e64 s[0:1], s19, v10
	v_cndmask_b32_e64 v10, v12, v11, s[0:1]
	v_add_co_u32_e64 v11, s[0:1], 2, v4
	v_addc_co_u32_e64 v12, s[0:1], 0, v9, s[0:1]
	v_add_co_u32_e64 v13, s[0:1], 1, v4
	v_addc_co_u32_e64 v14, s[0:1], 0, v9, s[0:1]
	v_subb_co_u32_e32 v8, vcc, v6, v8, vcc
	v_cmp_ne_u32_e64 s[0:1], 0, v10
	v_cmp_le_u32_e32 vcc, s19, v8
	v_cndmask_b32_e64 v10, v14, v12, s[0:1]
	v_cndmask_b32_e64 v12, 0, -1, vcc
	v_cmp_le_u32_e32 vcc, s18, v7
	v_cndmask_b32_e64 v7, 0, -1, vcc
	v_cmp_eq_u32_e32 vcc, s19, v8
	v_cndmask_b32_e32 v7, v12, v7, vcc
	v_cmp_ne_u32_e32 vcc, 0, v7
	v_cndmask_b32_e64 v7, v13, v11, s[0:1]
	v_cndmask_b32_e32 v8, v9, v10, vcc
	v_cndmask_b32_e32 v7, v4, v7, vcc
.LBB0_4:                                ;   in Loop: Header=BB0_2 Depth=1
	s_andn2_saveexec_b64 s[0:1], s[20:21]
	s_cbranch_execz .LBB0_6
; %bb.5:                                ;   in Loop: Header=BB0_2 Depth=1
	v_cvt_f32_u32_e32 v4, s18
	s_sub_i32 s20, 0, s18
	v_rcp_iflag_f32_e32 v4, v4
	v_mul_f32_e32 v4, 0x4f7ffffe, v4
	v_cvt_u32_f32_e32 v4, v4
	v_mul_lo_u32 v7, s20, v4
	v_mul_hi_u32 v7, v4, v7
	v_add_u32_e32 v4, v4, v7
	v_mul_hi_u32 v4, v5, v4
	v_mul_lo_u32 v7, v4, s18
	v_add_u32_e32 v8, 1, v4
	v_sub_u32_e32 v7, v5, v7
	v_subrev_u32_e32 v9, s18, v7
	v_cmp_le_u32_e32 vcc, s18, v7
	v_cndmask_b32_e32 v7, v7, v9, vcc
	v_cndmask_b32_e32 v4, v4, v8, vcc
	v_add_u32_e32 v8, 1, v4
	v_cmp_le_u32_e32 vcc, s18, v7
	v_cndmask_b32_e32 v7, v4, v8, vcc
	v_mov_b32_e32 v8, v3
.LBB0_6:                                ;   in Loop: Header=BB0_2 Depth=1
	s_or_b64 exec, exec, s[0:1]
	v_mul_lo_u32 v4, v8, s18
	v_mul_lo_u32 v11, v7, s19
	v_mad_u64_u32 v[9:10], s[0:1], v7, s18, 0
	s_load_dwordx2 s[0:1], s[6:7], 0x0
	s_add_u32 s14, s14, 1
	v_add3_u32 v4, v10, v11, v4
	v_sub_co_u32_e32 v5, vcc, v5, v9
	v_subb_co_u32_e32 v4, vcc, v6, v4, vcc
	s_waitcnt lgkmcnt(0)
	v_mul_lo_u32 v4, s0, v4
	v_mul_lo_u32 v6, s1, v5
	v_mad_u64_u32 v[1:2], s[0:1], s0, v5, v[1:2]
	s_addc_u32 s15, s15, 0
	s_add_u32 s6, s6, 8
	v_add3_u32 v2, v6, v2, v4
	v_mov_b32_e32 v4, s10
	v_mov_b32_e32 v5, s11
	s_addc_u32 s7, s7, 0
	v_cmp_ge_u64_e32 vcc, s[14:15], v[4:5]
	s_add_u32 s16, s16, 8
	s_addc_u32 s17, s17, 0
	s_cbranch_vccnz .LBB0_8
; %bb.7:                                ;   in Loop: Header=BB0_2 Depth=1
	v_mov_b32_e32 v5, v7
	v_mov_b32_e32 v6, v8
	s_branch .LBB0_2
.LBB0_8:
	s_lshl_b64 s[0:1], s[10:11], 3
	s_add_u32 s0, s2, s0
	s_addc_u32 s1, s3, s1
	s_load_dwordx2 s[2:3], s[0:1], 0x0
	s_load_dwordx2 s[6:7], s[4:5], 0x20
                                        ; implicit-def: $vgpr47
                                        ; implicit-def: $vgpr53
                                        ; implicit-def: $vgpr49
                                        ; implicit-def: $vgpr43
                                        ; implicit-def: $vgpr39
                                        ; implicit-def: $vgpr33
                                        ; implicit-def: $vgpr9
                                        ; implicit-def: $vgpr17
                                        ; implicit-def: $vgpr37
                                        ; implicit-def: $vgpr41
                                        ; implicit-def: $vgpr45
                                        ; implicit-def: $vgpr51
                                        ; implicit-def: $vgpr55
                                        ; implicit-def: $vgpr23
                                        ; implicit-def: $vgpr21
                                        ; implicit-def: $vgpr19
                                        ; implicit-def: $vgpr15
                                        ; implicit-def: $vgpr11
                                        ; implicit-def: $vgpr35
                                        ; implicit-def: $vgpr31
                                        ; implicit-def: $vgpr29
                                        ; implicit-def: $vgpr27
                                        ; implicit-def: $vgpr25
                                        ; implicit-def: $vgpr13
	s_waitcnt lgkmcnt(0)
	v_mad_u64_u32 v[1:2], s[0:1], s2, v7, v[1:2]
	s_mov_b32 s0, 0x6906907
	v_mul_lo_u32 v3, s2, v8
	v_mul_lo_u32 v4, s3, v7
	v_mul_hi_u32 v5, v0, s0
	v_cmp_gt_u64_e64 s[0:1], s[6:7], v[7:8]
                                        ; implicit-def: $vgpr7
	v_add3_u32 v2, v4, v2, v3
	v_mul_u32_u24_e32 v3, 39, v5
	v_sub_u32_e32 v0, v0, v3
	v_lshlrev_b64 v[2:3], 3, v[1:2]
	v_mov_b32_e32 v5, 0
	v_mov_b32_e32 v1, 0
	s_and_saveexec_b64 s[2:3], s[0:1]
	s_cbranch_execz .LBB0_12
; %bb.9:
	v_mov_b32_e32 v1, 0
	v_mov_b32_e32 v4, s13
	v_add_co_u32_e32 v6, vcc, s12, v2
	v_addc_co_u32_e32 v7, vcc, v4, v3, vcc
	v_lshlrev_b64 v[4:5], 3, v[0:1]
                                        ; implicit-def: $vgpr12
                                        ; implicit-def: $vgpr24
                                        ; implicit-def: $vgpr26
                                        ; implicit-def: $vgpr28
                                        ; implicit-def: $vgpr30
                                        ; implicit-def: $vgpr34
                                        ; implicit-def: $vgpr10
                                        ; implicit-def: $vgpr14
                                        ; implicit-def: $vgpr18
                                        ; implicit-def: $vgpr20
                                        ; implicit-def: $vgpr22
	v_add_co_u32_e32 v57, vcc, v6, v4
	v_addc_co_u32_e32 v58, vcc, v7, v5, vcc
	global_load_dwordx2 v[46:47], v[57:58], off
	global_load_dwordx2 v[52:53], v[57:58], off offset:336
	global_load_dwordx2 v[48:49], v[57:58], off offset:672
	;; [unrolled: 1-line block ×12, first 2 shown]
	v_cmp_gt_u32_e32 vcc, 3, v0
	v_mov_b32_e32 v5, v1
                                        ; implicit-def: $vgpr6
	s_and_saveexec_b64 s[4:5], vcc
	s_cbranch_execz .LBB0_11
; %bb.10:
	v_add_co_u32_e32 v34, vcc, 0x1000, v57
	v_addc_co_u32_e32 v35, vcc, 0, v58, vcc
	global_load_dwordx2 v[4:5], v[57:58], off offset:312
	global_load_dwordx2 v[22:23], v[57:58], off offset:648
	;; [unrolled: 1-line block ×12, first 2 shown]
	s_waitcnt vmcnt(11)
	v_mov_b32_e32 v1, v4
	global_load_dwordx2 v[34:35], v[34:35], off offset:248
.LBB0_11:
	s_or_b64 exec, exec, s[4:5]
.LBB0_12:
	s_or_b64 exec, exec, s[2:3]
	s_mov_b32 s2, 0xaaaaaaab
	v_mul_hi_u32 v4, v56, s2
	s_waitcnt vmcnt(0)
	v_sub_f32_e32 v59, v53, v55
	v_mul_f32_e32 v60, 0xbeedf032, v59
	v_sub_f32_e32 v62, v49, v51
	v_lshrrev_b32_e32 v4, 1, v4
	v_lshl_add_u32 v4, v4, 1, v4
	v_add_f32_e32 v57, v52, v54
	v_sub_u32_e32 v4, v56, v4
	v_mov_b32_e32 v56, v60
	v_mul_f32_e32 v63, 0xbf52af12, v62
	v_fmac_f32_e32 v56, 0x3f62ad3f, v57
	v_add_f32_e32 v61, v48, v50
	v_mov_b32_e32 v58, v63
	v_sub_f32_e32 v65, v43, v45
	v_add_f32_e32 v56, v56, v46
	v_fmac_f32_e32 v58, 0x3f116cb1, v61
	v_mul_f32_e32 v66, 0xbf7e222b, v65
	v_add_f32_e32 v56, v58, v56
	v_add_f32_e32 v64, v42, v44
	v_mov_b32_e32 v58, v66
	v_sub_f32_e32 v68, v39, v41
	v_fmac_f32_e32 v58, 0x3df6dbef, v64
	v_mul_f32_e32 v69, 0xbf6f5d39, v68
	v_add_f32_e32 v56, v58, v56
	v_add_f32_e32 v67, v38, v40
	v_mov_b32_e32 v58, v69
	v_sub_f32_e32 v71, v33, v37
	;; [unrolled: 6-line block ×3, first 2 shown]
	v_fmac_f32_e32 v58, 0xbf3f9e67, v70
	v_mul_f32_e32 v75, 0xbe750f2a, v74
	v_add_f32_e32 v56, v58, v56
	v_add_f32_e32 v73, v8, v16
	v_mov_b32_e32 v58, v75
	v_fmac_f32_e32 v58, 0xbf788fa5, v73
	v_add_f32_e32 v56, v58, v56
	v_mul_u32_u24_e32 v58, 0x222, v4
	v_add_f32_e32 v4, v46, v52
	v_add_f32_e32 v4, v4, v48
	;; [unrolled: 1-line block ×12, first 2 shown]
	v_mad_u32_u24 v4, v0, 52, 0
	v_lshl_add_u32 v4, v58, 2, v4
	ds_write2_b32 v4, v76, v56 offset1:1
	v_mul_f32_e32 v56, 0xbf52af12, v59
	v_mov_b32_e32 v76, v56
	v_mul_f32_e32 v77, 0xbf6f5d39, v62
	v_fmac_f32_e32 v76, 0x3f116cb1, v57
	v_mov_b32_e32 v78, v77
	v_add_f32_e32 v76, v76, v46
	v_fmac_f32_e32 v78, 0xbeb58ec6, v61
	v_add_f32_e32 v76, v78, v76
	v_mul_f32_e32 v78, 0xbf7e222b, v59
	v_mov_b32_e32 v79, v78
	v_mul_f32_e32 v80, 0xbe750f2a, v62
	v_fmac_f32_e32 v79, 0x3df6dbef, v57
	v_mov_b32_e32 v81, v80
	v_add_f32_e32 v79, v79, v46
	v_fmac_f32_e32 v81, 0xbf788fa5, v61
	v_add_f32_e32 v79, v81, v79
	v_mul_f32_e32 v81, 0xbe750f2a, v65
	v_mov_b32_e32 v82, v81
	v_fmac_f32_e32 v82, 0xbf788fa5, v64
	v_add_f32_e32 v76, v82, v76
	v_mul_f32_e32 v82, 0x3f6f5d39, v65
	v_mov_b32_e32 v83, v82
	;; [unrolled: 4-line block ×8, first 2 shown]
	v_fmac_f32_e32 v89, 0xbf3f9e67, v73
	v_add_f32_e32 v79, v89, v79
	ds_write2_b32 v4, v76, v79 offset0:2 offset1:3
	v_mul_f32_e32 v76, 0xbf6f5d39, v59
	v_mov_b32_e32 v79, v76
	v_mul_f32_e32 v89, 0x3f29c268, v62
	v_fmac_f32_e32 v79, 0xbeb58ec6, v57
	v_mov_b32_e32 v90, v89
	v_add_f32_e32 v79, v79, v46
	v_fmac_f32_e32 v90, 0xbf3f9e67, v61
	v_add_f32_e32 v79, v90, v79
	v_mul_f32_e32 v90, 0xbf29c268, v59
	v_mov_b32_e32 v91, v90
	v_mul_f32_e32 v92, 0x3f7e222b, v62
	v_fmac_f32_e32 v91, 0xbf3f9e67, v57
	v_mov_b32_e32 v93, v92
	v_add_f32_e32 v91, v91, v46
	v_fmac_f32_e32 v93, 0x3df6dbef, v61
	v_add_f32_e32 v91, v93, v91
	v_mul_f32_e32 v93, 0x3eedf032, v65
	v_mov_b32_e32 v94, v93
	v_fmac_f32_e32 v94, 0x3f62ad3f, v64
	v_add_f32_e32 v79, v94, v79
	v_mul_f32_e32 v94, 0xbf52af12, v65
	v_mov_b32_e32 v95, v94
	;; [unrolled: 4-line block ×8, first 2 shown]
	v_fmac_f32_e32 v101, 0xbeb58ec6, v73
	v_add_f32_e32 v91, v101, v91
	v_mul_f32_e32 v59, 0xbe750f2a, v59
	s_mov_b32 s3, 0xbf788fa5
	ds_write2_b32 v4, v79, v91 offset0:4 offset1:5
	v_mov_b32_e32 v79, v59
	v_mul_f32_e32 v62, 0x3eedf032, v62
	s_mov_b32 s2, 0x3f62ad3f
	v_fma_f32 v59, v57, s3, -v59
	v_mov_b32_e32 v91, v62
	v_add_f32_e32 v59, v59, v46
	v_fma_f32 v62, v61, s2, -v62
	v_add_f32_e32 v59, v62, v59
	v_mul_f32_e32 v62, 0xbf29c268, v65
	s_mov_b32 s4, 0xbf3f9e67
	v_fmac_f32_e32 v79, 0xbf788fa5, v57
	v_mov_b32_e32 v65, v62
	v_fma_f32 v62, v64, s4, -v62
	v_add_f32_e32 v79, v79, v46
	v_fmac_f32_e32 v91, 0x3f62ad3f, v61
	v_add_f32_e32 v59, v62, v59
	v_mul_f32_e32 v62, 0x3f52af12, v68
	s_mov_b32 s5, 0x3f116cb1
	v_add_f32_e32 v79, v91, v79
	v_fmac_f32_e32 v65, 0xbf3f9e67, v64
	v_mov_b32_e32 v68, v62
	v_fma_f32 v62, v67, s5, -v62
	v_add_f32_e32 v65, v65, v79
	v_fmac_f32_e32 v68, 0x3f116cb1, v67
	v_add_f32_e32 v59, v62, v59
	v_mul_f32_e32 v62, 0xbf6f5d39, v71
	s_mov_b32 s6, 0xbeb58ec6
	v_add_f32_e32 v65, v68, v65
	v_mov_b32_e32 v68, v62
	v_fma_f32 v62, v70, s6, -v62
	v_fmac_f32_e32 v68, 0xbeb58ec6, v70
	v_add_f32_e32 v59, v62, v59
	v_mul_f32_e32 v62, 0x3f7e222b, v74
	v_add_f32_e32 v65, v68, v65
	v_mov_b32_e32 v68, v62
	s_mov_b32 s7, 0x3df6dbef
	v_fmac_f32_e32 v68, 0x3df6dbef, v73
	v_fma_f32 v62, v73, s7, -v62
	v_add_f32_e32 v65, v68, v65
	v_add_f32_e32 v59, v62, v59
	ds_write2_b32 v4, v65, v59 offset0:6 offset1:7
	v_fma_f32 v59, v57, s2, -v60
	v_fma_f32 v56, v57, s5, -v56
	v_add_f32_e32 v59, v59, v46
	v_fma_f32 v63, v61, s5, -v63
	v_fma_f32 v60, v57, s7, -v78
	v_add_f32_e32 v59, v63, v59
	v_add_f32_e32 v56, v56, v46
	v_fma_f32 v63, v61, s6, -v77
	v_fma_f32 v62, v57, s6, -v76
	;; [unrolled: 1-line block ×3, first 2 shown]
	v_add_f32_e32 v56, v63, v56
	v_add_f32_e32 v60, v60, v46
	v_fma_f32 v63, v61, s3, -v80
	v_add_f32_e32 v60, v63, v60
	v_add_f32_e32 v62, v62, v46
	v_fma_f32 v63, v61, s4, -v89
	v_fma_f32 v61, v61, s7, -v92
	v_add_f32_e32 v46, v57, v46
	v_add_f32_e32 v46, v61, v46
	v_fma_f32 v57, v64, s7, -v66
	v_fma_f32 v61, v64, s5, -v94
	v_add_f32_e32 v57, v57, v59
	v_fma_f32 v59, v64, s3, -v81
	v_add_f32_e32 v46, v61, v46
	;; [unrolled: 2-line block ×5, first 2 shown]
	v_add_f32_e32 v59, v59, v60
	v_fma_f32 v60, v64, s2, -v93
	v_add_f32_e32 v56, v61, v56
	v_fma_f32 v61, v67, s2, -v84
	v_add_f32_e32 v60, v60, v62
	v_add_f32_e32 v59, v61, v59
	v_fma_f32 v61, v67, s7, -v95
	v_add_f32_e32 v60, v61, v60
	v_fma_f32 v61, v67, s3, -v96
	;; [unrolled: 2-line block ×10, first 2 shown]
	v_fma_f32 v62, v73, s6, -v100
	v_add_f32_e32 v60, v56, v60
	v_add_f32_e32 v46, v62, v46
	;; [unrolled: 1-line block ×3, first 2 shown]
	ds_write2_b32 v4, v46, v60 offset0:8 offset1:9
	v_mul_f32_e32 v46, 0x3f62ad3f, v71
	v_sub_f32_e32 v62, v23, v35
	ds_write2_b32 v4, v59, v61 offset0:10 offset1:11
	v_mov_b32_e32 v59, v46
	v_fmac_f32_e32 v59, 0xbeedf032, v62
	v_add_f32_e32 v72, v20, v30
	v_add_f32_e32 v60, v1, v59
	v_mul_f32_e32 v59, 0x3f116cb1, v72
	v_sub_f32_e32 v64, v21, v31
	v_mov_b32_e32 v61, v59
	v_fma_f32 v56, v73, s3, -v75
	v_fmac_f32_e32 v61, 0xbf52af12, v64
	v_add_f32_e32 v73, v18, v28
	v_add_f32_e32 v61, v60, v61
	v_mul_f32_e32 v60, 0x3df6dbef, v73
	v_add_f32_e32 v56, v56, v57
	v_add_f32_e32 v57, v1, v22
	v_sub_f32_e32 v66, v19, v29
	v_mov_b32_e32 v63, v60
	v_add_f32_e32 v57, v57, v20
	v_fmac_f32_e32 v63, 0xbf7e222b, v66
	v_add_f32_e32 v74, v14, v26
	v_add_f32_e32 v57, v57, v18
	v_add_f32_e32 v63, v61, v63
	v_mul_f32_e32 v61, 0xbeb58ec6, v74
	v_add_f32_e32 v57, v57, v14
	v_sub_f32_e32 v67, v15, v27
	v_mov_b32_e32 v65, v61
	v_add_f32_e32 v57, v57, v10
	v_fmac_f32_e32 v65, 0xbf6f5d39, v67
	v_add_f32_e32 v75, v10, v24
	v_add_f32_e32 v57, v57, v6
	v_add_f32_e32 v65, v63, v65
	v_mul_f32_e32 v63, 0xbf3f9e67, v75
	;; [unrolled: 9-line block ×3, first 2 shown]
	v_add_f32_e32 v57, v28, v57
	v_sub_f32_e32 v70, v7, v13
	v_mov_b32_e32 v77, v65
	v_add_f32_e32 v57, v30, v57
	v_fmac_f32_e32 v77, 0xbe750f2a, v70
	v_add_f32_e32 v57, v34, v57
	v_add_f32_e32 v69, v69, v77
	v_cmp_gt_u32_e64 s[2:3], 3, v0
	ds_write_b32 v4, v56 offset:48
	s_and_saveexec_b64 s[4:5], s[2:3]
	s_cbranch_execz .LBB0_14
; %bb.13:
	v_mul_f32_e32 v83, 0xbf788fa5, v71
	v_mov_b32_e32 v84, v83
	v_mul_f32_e32 v85, 0x3f62ad3f, v72
	v_fmac_f32_e32 v84, 0x3e750f2a, v62
	v_mov_b32_e32 v86, v85
	v_add_f32_e32 v84, v1, v84
	v_fmac_f32_e32 v86, 0xbeedf032, v64
	v_add_f32_e32 v84, v84, v86
	v_mul_f32_e32 v86, 0xbf3f9e67, v73
	v_mov_b32_e32 v87, v86
	v_fmac_f32_e32 v87, 0x3f29c268, v66
	v_add_f32_e32 v84, v84, v87
	v_mul_f32_e32 v87, 0x3f116cb1, v74
	v_fmac_f32_e32 v83, 0xbe750f2a, v62
	v_mov_b32_e32 v88, v87
	v_add_f32_e32 v83, v1, v83
	v_fmac_f32_e32 v85, 0x3eedf032, v64
	v_fmac_f32_e32 v88, 0xbf52af12, v67
	v_add_f32_e32 v83, v83, v85
	v_fmac_f32_e32 v86, 0xbf29c268, v66
	v_add_f32_e32 v84, v84, v88
	v_mul_f32_e32 v88, 0xbeb58ec6, v75
	v_add_f32_e32 v83, v83, v86
	v_fmac_f32_e32 v87, 0x3f52af12, v67
	v_mul_f32_e32 v85, 0xbf3f9e67, v71
	v_mov_b32_e32 v89, v88
	v_add_f32_e32 v83, v83, v87
	v_fmac_f32_e32 v88, 0xbf6f5d39, v68
	v_mov_b32_e32 v86, v85
	v_mul_f32_e32 v87, 0x3df6dbef, v72
	v_fmac_f32_e32 v89, 0x3f6f5d39, v68
	v_add_f32_e32 v83, v83, v88
	v_fmac_f32_e32 v86, 0x3f29c268, v62
	v_mov_b32_e32 v88, v87
	v_add_f32_e32 v84, v84, v89
	v_mul_f32_e32 v89, 0x3df6dbef, v76
	v_add_f32_e32 v86, v1, v86
	v_fmac_f32_e32 v88, 0xbf7e222b, v64
	v_mov_b32_e32 v90, v89
	v_fmac_f32_e32 v89, 0x3f7e222b, v70
	v_add_f32_e32 v86, v86, v88
	v_mul_f32_e32 v88, 0x3f116cb1, v73
	v_add_f32_e32 v83, v83, v89
	v_mov_b32_e32 v89, v88
	v_fmac_f32_e32 v89, 0x3f52af12, v66
	v_fmac_f32_e32 v90, 0xbf7e222b, v70
	v_add_f32_e32 v86, v86, v89
	v_mul_f32_e32 v89, 0xbf788fa5, v74
	v_fmac_f32_e32 v85, 0xbf29c268, v62
	v_add_f32_e32 v84, v84, v90
	v_mov_b32_e32 v90, v89
	v_add_f32_e32 v85, v1, v85
	v_fmac_f32_e32 v87, 0x3f7e222b, v64
	v_fmac_f32_e32 v90, 0xbe750f2a, v67
	v_add_f32_e32 v85, v85, v87
	v_fmac_f32_e32 v88, 0xbf52af12, v66
	v_add_f32_e32 v86, v86, v90
	v_mul_f32_e32 v90, 0x3f62ad3f, v75
	v_add_f32_e32 v85, v85, v88
	v_fmac_f32_e32 v89, 0x3e750f2a, v67
	v_mul_f32_e32 v87, 0xbeb58ec6, v71
	v_mov_b32_e32 v91, v90
	v_add_f32_e32 v85, v85, v89
	v_fmac_f32_e32 v90, 0x3eedf032, v68
	v_mov_b32_e32 v88, v87
	v_mul_f32_e32 v89, 0xbf3f9e67, v72
	v_fmac_f32_e32 v91, 0xbeedf032, v68
	v_add_f32_e32 v85, v85, v90
	v_fmac_f32_e32 v88, 0x3f6f5d39, v62
	v_mov_b32_e32 v90, v89
	v_add_f32_e32 v86, v86, v91
	v_mul_f32_e32 v91, 0xbeb58ec6, v76
	v_add_f32_e32 v88, v1, v88
	v_fmac_f32_e32 v90, 0xbf29c268, v64
	v_mov_b32_e32 v92, v91
	v_fmac_f32_e32 v91, 0xbf6f5d39, v70
	v_add_f32_e32 v88, v88, v90
	v_mul_f32_e32 v90, 0x3f62ad3f, v73
	v_add_f32_e32 v85, v85, v91
	v_mov_b32_e32 v91, v90
	v_fmac_f32_e32 v91, 0xbeedf032, v66
	v_fmac_f32_e32 v92, 0x3f6f5d39, v70
	v_add_f32_e32 v88, v88, v91
	v_mul_f32_e32 v91, 0x3df6dbef, v74
	v_fmac_f32_e32 v87, 0xbf6f5d39, v62
	v_add_f32_e32 v86, v86, v92
	v_mov_b32_e32 v92, v91
	v_add_f32_e32 v87, v1, v87
	v_fmac_f32_e32 v89, 0x3f29c268, v64
	v_fmac_f32_e32 v92, 0x3f7e222b, v67
	v_add_f32_e32 v87, v87, v89
	v_fmac_f32_e32 v90, 0x3eedf032, v66
	v_add_f32_e32 v88, v88, v92
	v_mul_f32_e32 v92, 0xbf788fa5, v75
	v_add_f32_e32 v87, v87, v90
	v_fmac_f32_e32 v91, 0xbf7e222b, v67
	v_mul_f32_e32 v89, 0x3df6dbef, v71
	v_mov_b32_e32 v93, v92
	v_add_f32_e32 v87, v87, v91
	v_fmac_f32_e32 v92, 0x3e750f2a, v68
	v_mov_b32_e32 v90, v89
	v_mul_f32_e32 v91, 0xbf788fa5, v72
	v_fmac_f32_e32 v93, 0xbe750f2a, v68
	v_add_f32_e32 v87, v87, v92
	v_fmac_f32_e32 v90, 0x3f7e222b, v62
	v_mov_b32_e32 v92, v91
	v_add_f32_e32 v88, v88, v93
	v_mul_f32_e32 v93, 0x3f116cb1, v76
	v_add_f32_e32 v90, v1, v90
	v_fmac_f32_e32 v92, 0x3e750f2a, v64
	v_fmac_f32_e32 v89, 0xbf7e222b, v62
	v_mov_b32_e32 v94, v93
	v_fmac_f32_e32 v93, 0x3f52af12, v70
	v_add_f32_e32 v90, v90, v92
	v_mul_f32_e32 v92, 0xbeb58ec6, v73
	v_add_f32_e32 v89, v1, v89
	v_fmac_f32_e32 v91, 0xbe750f2a, v64
	v_mul_f32_e32 v71, 0x3f116cb1, v71
	v_add_f32_e32 v87, v87, v93
	v_mov_b32_e32 v93, v92
	v_add_f32_e32 v89, v89, v91
	v_fmac_f32_e32 v92, 0x3f6f5d39, v66
	v_mov_b32_e32 v91, v71
	v_mul_f32_e32 v72, 0xbeb58ec6, v72
	v_fmac_f32_e32 v93, 0xbf6f5d39, v66
	v_add_f32_e32 v89, v89, v92
	v_fmac_f32_e32 v91, 0x3f52af12, v62
	v_mov_b32_e32 v92, v72
	v_mul_f32_e32 v77, 0xbeedf032, v62
	v_fmac_f32_e32 v94, 0xbf52af12, v70
	v_add_f32_e32 v90, v90, v93
	v_mul_f32_e32 v93, 0x3f62ad3f, v74
	v_add_f32_e32 v91, v1, v91
	v_fmac_f32_e32 v92, 0x3f6f5d39, v64
	v_mul_f32_e32 v73, 0xbf788fa5, v73
	v_mul_f32_e32 v78, 0xbf52af12, v64
	v_add_f32_e32 v88, v88, v94
	v_mov_b32_e32 v94, v93
	v_add_f32_e32 v91, v91, v92
	v_mov_b32_e32 v92, v73
	v_fmac_f32_e32 v71, 0xbf52af12, v62
	v_sub_f32_e32 v46, v46, v77
	v_mul_f32_e32 v79, 0xbf7e222b, v66
	v_fmac_f32_e32 v94, 0xbeedf032, v67
	v_fmac_f32_e32 v92, 0x3e750f2a, v66
	v_mul_f32_e32 v74, 0xbf3f9e67, v74
	v_add_f32_e32 v62, v1, v71
	v_add_f32_e32 v1, v1, v46
	v_sub_f32_e32 v46, v59, v78
	v_mul_f32_e32 v80, 0xbf6f5d39, v67
	v_add_f32_e32 v90, v90, v94
	v_mul_f32_e32 v94, 0x3f116cb1, v75
	v_add_f32_e32 v91, v91, v92
	v_mov_b32_e32 v92, v74
	v_fmac_f32_e32 v72, 0xbf6f5d39, v64
	v_add_f32_e32 v1, v1, v46
	v_sub_f32_e32 v46, v60, v79
	v_mul_f32_e32 v81, 0xbf29c268, v68
	v_mov_b32_e32 v95, v94
	v_fmac_f32_e32 v92, 0xbf29c268, v67
	v_mul_f32_e32 v75, 0x3df6dbef, v75
	v_add_f32_e32 v62, v62, v72
	v_fmac_f32_e32 v73, 0xbe750f2a, v66
	v_add_f32_e32 v1, v1, v46
	v_sub_f32_e32 v46, v61, v80
	v_mul_f32_e32 v82, 0xbe750f2a, v70
	v_fmac_f32_e32 v95, 0x3f52af12, v68
	v_fmac_f32_e32 v93, 0x3eedf032, v67
	v_add_f32_e32 v91, v91, v92
	v_mov_b32_e32 v92, v75
	v_add_f32_e32 v62, v62, v73
	v_fmac_f32_e32 v74, 0x3f29c268, v67
	v_add_f32_e32 v1, v1, v46
	v_sub_f32_e32 v46, v63, v81
	v_add_f32_e32 v90, v90, v95
	v_mul_f32_e32 v95, 0xbf3f9e67, v76
	v_add_f32_e32 v89, v89, v93
	v_fmac_f32_e32 v94, 0xbf52af12, v68
	v_fmac_f32_e32 v92, 0xbf7e222b, v68
	v_mul_f32_e32 v76, 0x3f62ad3f, v76
	v_add_f32_e32 v62, v62, v74
	v_fmac_f32_e32 v75, 0x3f7e222b, v68
	v_add_f32_e32 v1, v1, v46
	v_sub_f32_e32 v46, v65, v82
	v_mov_b32_e32 v96, v95
	v_add_f32_e32 v89, v89, v94
	v_fmac_f32_e32 v95, 0xbf29c268, v70
	v_add_f32_e32 v91, v91, v92
	v_mov_b32_e32 v92, v76
	v_add_f32_e32 v62, v62, v75
	v_fmac_f32_e32 v76, 0x3eedf032, v70
	v_add_f32_e32 v1, v1, v46
	v_add_u32_e32 v46, 0x7ec, v4
	v_add_f32_e32 v89, v89, v95
	v_add_f32_e32 v62, v62, v76
	ds_write2_b32 v46, v57, v69 offset1:1
	v_add_u32_e32 v46, 0x7f4, v4
	ds_write2_b32 v46, v62, v89 offset1:1
	v_add_u32_e32 v46, 0x7fc, v4
	;; [unrolled: 2-line block ×3, first 2 shown]
	v_fmac_f32_e32 v96, 0x3f29c268, v70
	v_fmac_f32_e32 v92, 0xbeedf032, v70
	ds_write2_b32 v46, v83, v84 offset1:1
	v_add_u32_e32 v46, 0x80c, v4
	v_add_f32_e32 v90, v90, v96
	v_add_f32_e32 v91, v91, v92
	ds_write2_b32 v46, v86, v88 offset1:1
	v_add_u32_e32 v46, 0x814, v4
	ds_write2_b32 v46, v90, v91 offset1:1
	ds_write_b32 v4, v1 offset:2076
.LBB0_14:
	s_or_b64 exec, exec, s[4:5]
	v_lshlrev_b32_e32 v1, 2, v58
	v_lshlrev_b32_e32 v58, 2, v0
	v_add3_u32 v68, 0, v58, v1
	v_add_u32_e32 v64, 0x400, v68
	v_add_u32_e32 v72, 0x200, v68
	s_waitcnt lgkmcnt(0)
	s_barrier
	v_add3_u32 v46, 0, v1, v58
	ds_read2_b32 v[58:59], v68 offset0:117 offset1:182
	ds_read2_b32 v[62:63], v64 offset0:43 offset1:108
	ds_read2_b32 v[60:61], v68 offset0:39 offset1:78
	ds_read2_b32 v[66:67], v72 offset0:93 offset1:132
	ds_read2_b32 v[64:65], v64 offset0:147 offset1:186
	ds_read_b32 v70, v46
	ds_read_b32 v71, v68 offset:1924
	v_cmp_gt_u32_e32 vcc, 26, v0
	s_and_saveexec_b64 s[4:5], vcc
	s_cbranch_execz .LBB0_16
; %bb.15:
	ds_read2_b32 v[56:57], v72 offset0:28 offset1:210
	ds_read_b32 v69, v68 offset:2080
.LBB0_16:
	s_or_b64 exec, exec, s[4:5]
	v_add_f32_e32 v72, v47, v53
	v_add_f32_e32 v72, v72, v49
	;; [unrolled: 1-line block ×10, first 2 shown]
	v_sub_f32_e32 v52, v52, v54
	v_add_f32_e32 v72, v72, v51
	v_add_f32_e32 v53, v53, v55
	v_mul_f32_e32 v54, 0xbeedf032, v52
	s_mov_b32 s10, 0x3f62ad3f
	v_mul_f32_e32 v73, 0xbf52af12, v52
	s_mov_b32 s7, 0x3f116cb1
	;; [unrolled: 2-line block ×6, first 2 shown]
	v_sub_f32_e32 v48, v48, v50
	v_add_f32_e32 v72, v72, v55
	v_fma_f32 v55, v53, s10, -v54
	v_fmac_f32_e32 v54, 0x3f62ad3f, v53
	v_fma_f32 v74, v53, s7, -v73
	v_fmac_f32_e32 v73, 0x3f116cb1, v53
	;; [unrolled: 2-line block ×6, first 2 shown]
	v_add_f32_e32 v49, v49, v51
	v_mul_f32_e32 v50, 0xbf52af12, v48
	v_add_f32_e32 v55, v55, v47
	v_add_f32_e32 v54, v54, v47
	;; [unrolled: 1-line block ×12, first 2 shown]
	v_fma_f32 v51, v49, s7, -v50
	v_fmac_f32_e32 v50, 0x3f116cb1, v49
	v_mul_f32_e32 v52, 0xbf6f5d39, v48
	v_add_f32_e32 v50, v50, v54
	v_fma_f32 v53, v49, s11, -v52
	v_fmac_f32_e32 v52, 0xbeb58ec6, v49
	v_mul_f32_e32 v54, 0xbe750f2a, v48
	v_add_f32_e32 v51, v51, v55
	v_add_f32_e32 v52, v52, v73
	v_fma_f32 v55, v49, s15, -v54
	v_fmac_f32_e32 v54, 0xbf788fa5, v49
	v_mul_f32_e32 v73, 0x3f29c268, v48
	v_add_f32_e32 v53, v53, v74
	v_add_f32_e32 v54, v54, v75
	v_fma_f32 v74, v49, s14, -v73
	v_fmac_f32_e32 v73, 0xbf3f9e67, v49
	v_mul_f32_e32 v75, 0x3f7e222b, v48
	v_mul_f32_e32 v48, 0x3eedf032, v48
	v_sub_f32_e32 v42, v42, v44
	v_add_f32_e32 v73, v73, v77
	v_fma_f32 v77, v49, s10, -v48
	v_fmac_f32_e32 v48, 0x3f62ad3f, v49
	v_add_f32_e32 v43, v43, v45
	v_mul_f32_e32 v44, 0xbf7e222b, v42
	v_add_f32_e32 v47, v48, v47
	v_fma_f32 v45, v43, s6, -v44
	v_fmac_f32_e32 v44, 0x3df6dbef, v43
	v_mul_f32_e32 v48, 0xbe750f2a, v42
	v_add_f32_e32 v55, v55, v76
	v_fma_f32 v76, v49, s6, -v75
	v_fmac_f32_e32 v75, 0x3df6dbef, v49
	v_add_f32_e32 v44, v44, v50
	v_fma_f32 v49, v43, s15, -v48
	v_fmac_f32_e32 v48, 0xbf788fa5, v43
	v_mul_f32_e32 v50, 0x3f6f5d39, v42
	v_add_f32_e32 v45, v45, v51
	v_add_f32_e32 v48, v48, v52
	v_fma_f32 v51, v43, s11, -v50
	v_fmac_f32_e32 v50, 0xbeb58ec6, v43
	v_mul_f32_e32 v52, 0x3eedf032, v42
	v_sub_f32_e32 v38, v38, v40
	v_add_f32_e32 v49, v49, v53
	v_add_f32_e32 v50, v50, v54
	v_fma_f32 v53, v43, s10, -v52
	v_fmac_f32_e32 v52, 0x3f62ad3f, v43
	v_mul_f32_e32 v54, 0xbf52af12, v42
	v_mul_f32_e32 v42, 0xbf29c268, v42
	v_add_f32_e32 v39, v39, v41
	v_mul_f32_e32 v40, 0xbf6f5d39, v38
	v_add_f32_e32 v51, v51, v55
	v_add_f32_e32 v52, v52, v73
	v_fma_f32 v55, v43, s7, -v54
	v_fmac_f32_e32 v54, 0x3f116cb1, v43
	v_fma_f32 v73, v43, s14, -v42
	v_fmac_f32_e32 v42, 0xbf3f9e67, v43
	v_fma_f32 v41, v39, s11, -v40
	v_fmac_f32_e32 v40, 0xbeb58ec6, v39
	v_mul_f32_e32 v43, 0x3f29c268, v38
	v_add_f32_e32 v41, v41, v45
	v_add_f32_e32 v40, v40, v44
	v_fma_f32 v44, v39, s14, -v43
	v_fmac_f32_e32 v43, 0xbf3f9e67, v39
	v_mul_f32_e32 v45, 0x3eedf032, v38
	v_add_f32_e32 v42, v42, v47
	v_add_f32_e32 v43, v43, v48
	v_fma_f32 v47, v39, s10, -v45
	v_fmac_f32_e32 v45, 0x3f62ad3f, v39
	v_mul_f32_e32 v48, 0xbf7e222b, v38
	v_sub_f32_e32 v32, v32, v36
	v_add_f32_e32 v44, v44, v49
	v_add_f32_e32 v45, v45, v50
	v_fma_f32 v49, v39, s6, -v48
	v_fmac_f32_e32 v48, 0x3df6dbef, v39
	v_mul_f32_e32 v50, 0x3e750f2a, v38
	v_mul_f32_e32 v38, 0x3f52af12, v38
	v_add_f32_e32 v33, v33, v37
	v_mul_f32_e32 v36, 0xbf29c268, v32
	v_add_f32_e32 v47, v47, v51
	v_add_f32_e32 v48, v48, v52
	v_fma_f32 v51, v39, s15, -v50
	v_fmac_f32_e32 v50, 0xbf788fa5, v39
	v_fma_f32 v52, v39, s7, -v38
	v_fmac_f32_e32 v38, 0x3f116cb1, v39
	;; [unrolled: 2-line block ×3, first 2 shown]
	v_mul_f32_e32 v39, 0x3f7e222b, v32
	v_sub_f32_e32 v16, v8, v16
	v_add_f32_e32 v37, v37, v41
	v_add_f32_e32 v36, v36, v40
	v_fma_f32 v40, v33, s6, -v39
	v_fmac_f32_e32 v39, 0x3df6dbef, v33
	v_mul_f32_e32 v41, 0xbf52af12, v32
	v_add_f32_e32 v9, v9, v17
	v_mul_f32_e32 v8, 0xbe750f2a, v16
	v_add_f32_e32 v38, v38, v42
	v_add_f32_e32 v39, v39, v43
	v_fma_f32 v42, v33, s7, -v41
	v_fmac_f32_e32 v41, 0x3f116cb1, v33
	v_mul_f32_e32 v43, 0x3e750f2a, v32
	v_fma_f32 v17, v9, s15, -v8
	v_add_f32_e32 v40, v40, v44
	v_add_f32_e32 v41, v41, v45
	v_fma_f32 v44, v33, s15, -v43
	v_fmac_f32_e32 v43, 0xbf788fa5, v33
	v_mul_f32_e32 v45, 0x3eedf032, v32
	v_mul_f32_e32 v32, 0xbf6f5d39, v32
	v_add_f32_e32 v37, v17, v37
	v_mul_f32_e32 v17, 0x3eedf032, v16
	v_add_f32_e32 v42, v42, v47
	v_add_f32_e32 v43, v43, v48
	v_fma_f32 v47, v33, s10, -v45
	v_fmac_f32_e32 v45, 0x3f62ad3f, v33
	v_fma_f32 v48, v33, s11, -v32
	v_fmac_f32_e32 v32, 0xbeb58ec6, v33
	;; [unrolled: 2-line block ×3, first 2 shown]
	v_add_f32_e32 v32, v32, v38
	v_fmac_f32_e32 v8, 0xbf788fa5, v9
	v_add_f32_e32 v38, v17, v39
	v_mul_f32_e32 v17, 0xbf29c268, v16
	v_add_f32_e32 v74, v74, v78
	v_add_f32_e32 v8, v8, v36
	;; [unrolled: 1-line block ×3, first 2 shown]
	v_fma_f32 v33, v9, s14, -v17
	v_fmac_f32_e32 v17, 0xbf3f9e67, v9
	v_add_f32_e32 v75, v75, v79
	v_add_f32_e32 v53, v53, v74
	;; [unrolled: 1-line block ×3, first 2 shown]
	v_mul_f32_e32 v17, 0x3f52af12, v16
	v_add_f32_e32 v54, v54, v75
	v_add_f32_e32 v49, v49, v53
	;; [unrolled: 1-line block ×3, first 2 shown]
	v_fma_f32 v33, v9, s7, -v17
	v_fmac_f32_e32 v17, 0x3f116cb1, v9
	v_add_f32_e32 v50, v50, v54
	v_add_f32_e32 v44, v44, v49
	;; [unrolled: 1-line block ×3, first 2 shown]
	v_mul_f32_e32 v17, 0xbf6f5d39, v16
	v_add_f32_e32 v76, v76, v80
	v_add_f32_e32 v45, v45, v50
	;; [unrolled: 1-line block ×3, first 2 shown]
	v_fma_f32 v33, v9, s11, -v17
	v_fmac_f32_e32 v17, 0xbeb58ec6, v9
	v_mul_f32_e32 v16, 0x3f7e222b, v16
	v_add_f32_e32 v55, v55, v76
	v_add_f32_e32 v44, v17, v45
	v_fma_f32 v17, v9, s6, -v16
	v_fmac_f32_e32 v16, 0x3df6dbef, v9
	v_add_f32_e32 v9, v5, v23
	v_add_f32_e32 v51, v51, v55
	;; [unrolled: 1-line block ×9, first 2 shown]
	v_sub_f32_e32 v33, v22, v34
	v_add_f32_e32 v52, v52, v73
	v_add_f32_e32 v47, v16, v32
	;; [unrolled: 1-line block ×4, first 2 shown]
	v_mul_f32_e32 v34, 0xbeedf032, v33
	v_sub_f32_e32 v23, v20, v30
	v_add_f32_e32 v48, v48, v52
	v_add_f32_e32 v9, v9, v7
	v_fma_f32 v16, v32, s10, -v34
	v_add_f32_e32 v22, v21, v31
	v_mul_f32_e32 v30, 0xbf52af12, v23
	v_sub_f32_e32 v20, v18, v28
	v_add_f32_e32 v45, v17, v48
	v_add_f32_e32 v9, v9, v13
	;; [unrolled: 1-line block ×3, first 2 shown]
	v_fma_f32 v17, v22, s7, -v30
	v_add_f32_e32 v19, v19, v29
	v_mul_f32_e32 v28, 0xbf7e222b, v20
	v_sub_f32_e32 v14, v14, v26
	v_add_f32_e32 v9, v25, v9
	v_add_f32_e32 v16, v16, v17
	v_fma_f32 v17, v19, s6, -v28
	v_add_f32_e32 v15, v15, v27
	v_mul_f32_e32 v21, 0xbf6f5d39, v14
	v_sub_f32_e32 v10, v10, v24
	v_add_f32_e32 v9, v27, v9
	v_add_f32_e32 v16, v16, v17
	v_fma_f32 v17, v15, s11, -v21
	v_add_f32_e32 v11, v11, v25
	v_mul_f32_e32 v18, 0xbf29c268, v10
	v_sub_f32_e32 v6, v6, v12
	v_add_f32_e32 v9, v29, v9
	v_add_f32_e32 v16, v16, v17
	v_fma_f32 v17, v11, s14, -v18
	v_add_f32_e32 v7, v7, v13
	v_mul_f32_e32 v12, 0xbe750f2a, v6
	v_add_f32_e32 v9, v31, v9
	v_add_f32_e32 v16, v16, v17
	v_fma_f32 v13, v7, s15, -v12
	v_add_f32_e32 v9, v35, v9
	v_add_f32_e32 v16, v16, v13
	v_add_u32_e32 v17, 39, v0
	s_waitcnt lgkmcnt(0)
	s_barrier
	ds_write2_b32 v4, v72, v37 offset1:1
	ds_write2_b32 v4, v36, v39 offset0:2 offset1:3
	ds_write2_b32 v4, v41, v43 offset0:4 offset1:5
	;; [unrolled: 1-line block ×5, first 2 shown]
	ds_write_b32 v4, v8 offset:48
	s_and_saveexec_b64 s[4:5], s[2:3]
	s_cbranch_execz .LBB0_18
; %bb.17:
	v_mul_f32_e32 v4, 0x3f62ad3f, v32
	v_mul_f32_e32 v13, 0x3f116cb1, v22
	v_add_f32_e32 v4, v4, v34
	v_add_f32_e32 v4, v5, v4
	v_mul_f32_e32 v29, 0xbf52af12, v33
	v_add_f32_e32 v13, v13, v30
	v_fma_f32 v31, v32, s7, -v29
	v_fmac_f32_e32 v29, 0x3f116cb1, v32
	v_add_f32_e32 v4, v4, v13
	v_mul_f32_e32 v13, 0xbf6f5d39, v23
	v_add_f32_e32 v29, v5, v29
	v_mul_f32_e32 v34, 0xbf7e222b, v33
	v_fma_f32 v30, v22, s11, -v13
	v_fmac_f32_e32 v13, 0xbeb58ec6, v22
	v_add_f32_e32 v31, v5, v31
	v_fma_f32 v35, v32, s6, -v34
	v_fmac_f32_e32 v34, 0x3df6dbef, v32
	v_mul_f32_e32 v36, 0xbf6f5d39, v33
	v_mul_f32_e32 v38, 0xbf29c268, v33
	v_mul_f32_e32 v33, 0xbe750f2a, v33
	v_add_f32_e32 v13, v29, v13
	v_mul_f32_e32 v29, 0xbe750f2a, v23
	v_add_f32_e32 v34, v5, v34
	v_fma_f32 v37, v32, s11, -v36
	v_fmac_f32_e32 v36, 0xbeb58ec6, v32
	v_fma_f32 v39, v32, s14, -v38
	v_fmac_f32_e32 v38, 0xbf3f9e67, v32
	;; [unrolled: 2-line block ×3, first 2 shown]
	v_add_f32_e32 v30, v31, v30
	v_fma_f32 v31, v22, s15, -v29
	v_fmac_f32_e32 v29, 0xbf788fa5, v22
	v_mul_f32_e32 v32, 0x3f29c268, v23
	v_mul_f32_e32 v24, 0x3df6dbef, v19
	v_add_f32_e32 v35, v5, v35
	v_add_f32_e32 v37, v5, v37
	;; [unrolled: 1-line block ×8, first 2 shown]
	v_fma_f32 v33, v22, s14, -v32
	v_fmac_f32_e32 v32, 0xbf3f9e67, v22
	v_mul_f32_e32 v34, 0x3f7e222b, v23
	v_mul_f32_e32 v23, 0x3eedf032, v23
	v_add_f32_e32 v31, v35, v31
	v_add_f32_e32 v32, v36, v32
	v_fma_f32 v35, v22, s6, -v34
	v_fmac_f32_e32 v34, 0x3df6dbef, v22
	v_fma_f32 v36, v22, s10, -v23
	v_fmac_f32_e32 v23, 0x3f62ad3f, v22
	v_add_f32_e32 v22, v24, v28
	v_add_f32_e32 v4, v4, v22
	v_mul_f32_e32 v22, 0xbe750f2a, v20
	v_add_f32_e32 v5, v5, v23
	v_fma_f32 v23, v19, s15, -v22
	v_fmac_f32_e32 v22, 0xbf788fa5, v19
	v_add_f32_e32 v13, v13, v22
	v_mul_f32_e32 v22, 0x3f6f5d39, v20
	v_fma_f32 v24, v19, s11, -v22
	v_fmac_f32_e32 v22, 0xbeb58ec6, v19
	v_mul_f32_e32 v28, 0x3eedf032, v20
	v_mul_f32_e32 v25, 0xbeb58ec6, v15
	v_add_f32_e32 v23, v30, v23
	v_add_f32_e32 v22, v29, v22
	v_fma_f32 v29, v19, s10, -v28
	v_fmac_f32_e32 v28, 0x3f62ad3f, v19
	v_mul_f32_e32 v30, 0xbf52af12, v20
	v_mul_f32_e32 v20, 0xbf29c268, v20
	v_add_f32_e32 v24, v31, v24
	v_add_f32_e32 v28, v32, v28
	v_fma_f32 v31, v19, s7, -v30
	v_fmac_f32_e32 v30, 0x3f116cb1, v19
	v_fma_f32 v32, v19, s14, -v20
	v_fmac_f32_e32 v20, 0xbf3f9e67, v19
	v_add_f32_e32 v19, v25, v21
	v_add_f32_e32 v4, v4, v19
	v_mul_f32_e32 v19, 0x3f29c268, v14
	v_add_f32_e32 v5, v5, v20
	v_fma_f32 v20, v15, s14, -v19
	v_fmac_f32_e32 v19, 0xbf3f9e67, v15
	v_add_f32_e32 v13, v13, v19
	v_mul_f32_e32 v19, 0x3eedf032, v14
	v_fma_f32 v21, v15, s10, -v19
	v_fmac_f32_e32 v19, 0x3f62ad3f, v15
	v_add_f32_e32 v19, v22, v19
	v_mul_f32_e32 v22, 0xbf7e222b, v14
	v_add_f32_e32 v20, v23, v20
	v_add_f32_e32 v21, v24, v21
	v_fma_f32 v23, v15, s6, -v22
	v_fmac_f32_e32 v22, 0x3df6dbef, v15
	v_mul_f32_e32 v24, 0x3e750f2a, v14
	v_mul_f32_e32 v14, 0x3f52af12, v14
	;; [unrolled: 1-line block ×3, first 2 shown]
	v_add_f32_e32 v22, v28, v22
	v_fma_f32 v28, v15, s7, -v14
	v_fmac_f32_e32 v14, 0x3f116cb1, v15
	v_add_f32_e32 v5, v5, v14
	v_add_f32_e32 v14, v26, v18
	;; [unrolled: 1-line block ×3, first 2 shown]
	v_mul_f32_e32 v14, 0x3f7e222b, v10
	v_fma_f32 v25, v15, s15, -v24
	v_fmac_f32_e32 v24, 0xbf788fa5, v15
	v_fma_f32 v15, v11, s6, -v14
	v_fmac_f32_e32 v14, 0x3df6dbef, v11
	v_add_f32_e32 v13, v13, v14
	v_mul_f32_e32 v14, 0xbf52af12, v10
	v_add_f32_e32 v33, v37, v33
	v_fma_f32 v18, v11, s7, -v14
	v_fmac_f32_e32 v14, 0x3f116cb1, v11
	v_add_f32_e32 v29, v33, v29
	v_add_f32_e32 v14, v19, v14
	v_mul_f32_e32 v19, 0x3e750f2a, v10
	v_add_f32_e32 v23, v29, v23
	v_add_f32_e32 v15, v20, v15
	;; [unrolled: 1-line block ×3, first 2 shown]
	v_fma_f32 v20, v11, s15, -v19
	v_mul_f32_e32 v21, 0x3eedf032, v10
	v_mul_f32_e32 v10, 0xbf6f5d39, v10
	;; [unrolled: 1-line block ×3, first 2 shown]
	v_add_f32_e32 v20, v23, v20
	v_fma_f32 v23, v11, s11, -v10
	v_fmac_f32_e32 v10, 0xbeb58ec6, v11
	v_add_f32_e32 v5, v5, v10
	v_add_f32_e32 v10, v27, v12
	v_fmac_f32_e32 v19, 0xbf788fa5, v11
	v_add_f32_e32 v4, v4, v10
	v_mul_f32_e32 v10, 0x3eedf032, v6
	v_add_f32_e32 v19, v22, v19
	v_fma_f32 v22, v11, s10, -v21
	v_fmac_f32_e32 v21, 0x3f62ad3f, v11
	v_fma_f32 v11, v7, s10, -v10
	v_fmac_f32_e32 v10, 0x3f62ad3f, v7
	v_mul_f32_e32 v12, 0xbf29c268, v6
	v_add_f32_e32 v10, v13, v10
	v_fma_f32 v13, v7, s14, -v12
	v_fmac_f32_e32 v12, 0xbf3f9e67, v7
	v_add_f32_e32 v12, v14, v12
	v_mul_f32_e32 v14, 0x3f52af12, v6
	v_add_f32_e32 v35, v39, v35
	v_add_f32_e32 v34, v38, v34
	;; [unrolled: 1-line block ×5, first 2 shown]
	v_fma_f32 v15, v7, s7, -v14
	v_mul_f32_e32 v18, 0xbf6f5d39, v6
	v_mul_f32_e32 v6, 0x3f7e222b, v6
	v_add_f32_e32 v31, v35, v31
	v_add_f32_e32 v30, v34, v30
	v_add_f32_e32 v32, v36, v32
	v_add_f32_e32 v15, v20, v15
	v_fma_f32 v20, v7, s6, -v6
	v_fmac_f32_e32 v6, 0x3df6dbef, v7
	v_add_f32_e32 v25, v31, v25
	v_add_f32_e32 v24, v30, v24
	v_add_f32_e32 v28, v32, v28
	v_fmac_f32_e32 v14, 0x3f116cb1, v7
	v_add_f32_e32 v5, v5, v6
	v_mul_u32_u24_e32 v6, 52, v17
	v_add_f32_e32 v22, v25, v22
	v_add_f32_e32 v21, v24, v21
	;; [unrolled: 1-line block ×4, first 2 shown]
	v_fma_f32 v19, v7, s11, -v18
	v_fmac_f32_e32 v18, 0xbeb58ec6, v7
	v_add3_u32 v6, 0, v6, v1
	v_add_f32_e32 v19, v22, v19
	v_add_f32_e32 v18, v21, v18
	;; [unrolled: 1-line block ×3, first 2 shown]
	ds_write2_b32 v6, v9, v16 offset1:1
	ds_write2_b32 v6, v11, v13 offset0:2 offset1:3
	ds_write2_b32 v6, v15, v19 offset0:4 offset1:5
	;; [unrolled: 1-line block ×5, first 2 shown]
	ds_write_b32 v6, v4 offset:48
.LBB0_18:
	s_or_b64 exec, exec, s[4:5]
	v_add_u32_e32 v12, 0x400, v68
	v_add_u32_e32 v18, 0x200, v68
	s_waitcnt lgkmcnt(0)
	s_barrier
	ds_read2_b32 v[4:5], v68 offset0:117 offset1:182
	ds_read2_b32 v[10:11], v12 offset0:43 offset1:108
	;; [unrolled: 1-line block ×5, first 2 shown]
	ds_read_b32 v20, v46
	ds_read_b32 v26, v68 offset:1924
	s_and_saveexec_b64 s[2:3], vcc
	s_cbranch_execz .LBB0_20
; %bb.19:
	ds_read2_b32 v[8:9], v18 offset0:28 offset1:210
	ds_read_b32 v16, v68 offset:2080
.LBB0_20:
	s_or_b64 exec, exec, s[2:3]
	s_movk_i32 s2, 0x4f
	v_mul_lo_u16_sdwa v18, v0, s2 dst_sel:DWORD dst_unused:UNUSED_PAD src0_sel:BYTE_0 src1_sel:DWORD
	v_mul_lo_u16_sdwa v21, v17, s2 dst_sel:DWORD dst_unused:UNUSED_PAD src0_sel:BYTE_0 src1_sel:DWORD
	v_lshrrev_b16_e32 v44, 10, v18
	v_lshrrev_b16_e32 v55, 10, v21
	v_mul_lo_u16_e32 v18, 13, v44
	v_mul_lo_u16_e32 v21, 13, v55
	v_sub_u16_e32 v45, v0, v18
	v_mov_b32_e32 v18, 4
	v_sub_u16_e32 v72, v17, v21
	v_lshlrev_b32_sdwa v19, v18, v45 dst_sel:DWORD dst_unused:UNUSED_PAD src0_sel:DWORD src1_sel:BYTE_0
	v_lshlrev_b32_sdwa v17, v18, v72 dst_sel:DWORD dst_unused:UNUSED_PAD src0_sel:DWORD src1_sel:BYTE_0
	global_load_dwordx4 v[32:35], v19, s[8:9]
	global_load_dwordx4 v[36:39], v17, s[8:9]
	v_add_u16_e32 v17, 0x4e, v0
	v_mul_lo_u16_sdwa v19, v17, s2 dst_sel:DWORD dst_unused:UNUSED_PAD src0_sel:BYTE_0 src1_sel:DWORD
	v_lshrrev_b16_e32 v73, 10, v19
	v_mul_lo_u16_e32 v19, 13, v73
	v_sub_u16_e32 v74, v17, v19
	v_add_u16_e32 v19, 0x75, v0
	v_mul_lo_u16_sdwa v21, v19, s2 dst_sel:DWORD dst_unused:UNUSED_PAD src0_sel:BYTE_0 src1_sel:DWORD
	v_lshrrev_b16_e32 v75, 10, v21
	v_mul_lo_u16_e32 v21, 13, v75
	v_lshlrev_b32_sdwa v17, v18, v74 dst_sel:DWORD dst_unused:UNUSED_PAD src0_sel:DWORD src1_sel:BYTE_0
	v_sub_u16_e32 v76, v19, v21
	v_lshlrev_b32_sdwa v19, v18, v76 dst_sel:DWORD dst_unused:UNUSED_PAD src0_sel:DWORD src1_sel:BYTE_0
	global_load_dwordx4 v[40:43], v17, s[8:9]
	global_load_dwordx4 v[47:50], v19, s[8:9]
	v_add_u16_e32 v17, 0x9c, v0
	v_mul_lo_u16_sdwa v19, v17, s2 dst_sel:DWORD dst_unused:UNUSED_PAD src0_sel:BYTE_0 src1_sel:DWORD
	v_lshrrev_b16_e32 v21, 10, v19
	v_mul_lo_u16_e32 v19, 13, v21
	v_sub_u16_e32 v22, v17, v19
	v_lshlrev_b32_sdwa v17, v18, v22 dst_sel:DWORD dst_unused:UNUSED_PAD src0_sel:DWORD src1_sel:BYTE_0
	global_load_dwordx4 v[51:54], v17, s[8:9]
	s_movk_i32 s4, 0x9c
	s_waitcnt vmcnt(0) lgkmcnt(0)
	s_barrier
	v_mul_f32_e32 v30, v5, v33
	v_mul_f32_e32 v31, v11, v35
	v_mul_f32_e32 v27, v59, v33
	v_mul_f32_e32 v29, v12, v39
	v_mul_f32_e32 v39, v64, v39
	v_fmac_f32_e32 v30, v59, v32
	v_fmac_f32_e32 v31, v63, v34
	v_mul_f32_e32 v35, v63, v35
	v_fma_f32 v33, v5, v32, -v27
	v_fma_f32 v32, v12, v38, -v39
	v_mul_f32_e32 v28, v14, v37
	v_mul_f32_e32 v37, v66, v37
	v_fma_f32 v34, v11, v34, -v35
	v_mul_f32_e32 v25, v13, v43
	v_mul_f32_e32 v43, v65, v43
	;; [unrolled: 1-line block ×7, first 2 shown]
	v_fma_f32 v12, v13, v42, -v43
	v_mul_f32_e32 v23, v9, v52
	v_mul_f32_e32 v52, v57, v52
	v_add_f32_e32 v13, v30, v31
	v_mul_f32_e32 v41, v67, v41
	v_fmac_f32_e32 v19, v67, v40
	v_fma_f32 v5, v10, v47, -v48
	v_fma_f32 v10, v26, v49, -v50
	;; [unrolled: 1-line block ×3, first 2 shown]
	v_add_f32_e32 v9, v70, v30
	v_fmac_f32_e32 v70, -0.5, v13
	v_fma_f32 v14, v14, v36, -v37
	v_fmac_f32_e32 v29, v64, v38
	v_fma_f32 v11, v15, v40, -v41
	v_fmac_f32_e32 v25, v65, v42
	v_sub_f32_e32 v15, v33, v34
	v_add_f32_e32 v37, v9, v31
	v_mov_b32_e32 v38, v70
	v_add_f32_e32 v9, v61, v19
	v_fmac_f32_e32 v70, 0x3f5db3d7, v15
	v_fmac_f32_e32 v38, 0xbf5db3d7, v15
	v_add_f32_e32 v15, v9, v25
	v_add_f32_e32 v9, v19, v25
	v_fmac_f32_e32 v61, -0.5, v9
	v_fmac_f32_e32 v17, v62, v47
	v_sub_f32_e32 v9, v11, v12
	v_mov_b32_e32 v40, v61
	v_fmac_f32_e32 v18, v71, v49
	v_fmac_f32_e32 v40, 0xbf5db3d7, v9
	;; [unrolled: 1-line block ×3, first 2 shown]
	v_add_f32_e32 v9, v58, v17
	v_mul_f32_e32 v24, v16, v54
	v_mul_f32_e32 v54, v69, v54
	v_fmac_f32_e32 v28, v66, v36
	v_add_f32_e32 v41, v9, v18
	v_add_f32_e32 v9, v17, v18
	v_fma_f32 v27, v16, v53, -v54
	v_add_f32_e32 v16, v60, v28
	v_add_f32_e32 v35, v28, v29
	v_fmac_f32_e32 v58, -0.5, v9
	v_add_f32_e32 v13, v16, v29
	v_fma_f32 v16, -0.5, v35, v60
	v_sub_f32_e32 v9, v5, v10
	v_mov_b32_e32 v42, v58
	v_sub_f32_e32 v36, v14, v32
	v_mov_b32_e32 v39, v16
	v_fmac_f32_e32 v42, 0xbf5db3d7, v9
	v_fmac_f32_e32 v58, 0x3f5db3d7, v9
	v_mov_b32_e32 v9, 2
	v_fmac_f32_e32 v16, 0x3f5db3d7, v36
	v_fmac_f32_e32 v39, 0xbf5db3d7, v36
	v_mad_u32_u24 v35, v44, s4, 0
	v_lshlrev_b32_sdwa v36, v9, v45 dst_sel:DWORD dst_unused:UNUSED_PAD src0_sel:DWORD src1_sel:BYTE_0
	v_add3_u32 v35, v35, v36, v1
	ds_write2_b32 v35, v37, v38 offset1:13
	ds_write_b32 v35, v70 offset:104
	v_mad_u32_u24 v36, v55, s4, 0
	v_lshlrev_b32_sdwa v37, v9, v72 dst_sel:DWORD dst_unused:UNUSED_PAD src0_sel:DWORD src1_sel:BYTE_0
	v_add3_u32 v36, v36, v37, v1
	ds_write2_b32 v36, v13, v39 offset1:13
	ds_write_b32 v36, v16 offset:104
	;; [unrolled: 5-line block ×3, first 2 shown]
	v_mad_u32_u24 v13, v75, s4, 0
	v_lshlrev_b32_sdwa v15, v9, v76 dst_sel:DWORD dst_unused:UNUSED_PAD src0_sel:DWORD src1_sel:BYTE_0
	v_fmac_f32_e32 v23, v57, v51
	v_fmac_f32_e32 v24, v69, v53
	v_add3_u32 v38, v13, v15, v1
	ds_write2_b32 v38, v41, v42 offset1:13
	ds_write_b32 v38, v58 offset:104
	s_and_saveexec_b64 s[2:3], vcc
	s_cbranch_execz .LBB0_22
; %bb.21:
	v_add_f32_e32 v13, v23, v24
	v_fma_f32 v13, -0.5, v13, v56
	v_sub_f32_e32 v15, v26, v27
	v_mov_b32_e32 v16, v13
	v_fmac_f32_e32 v16, 0x3f5db3d7, v15
	v_fmac_f32_e32 v13, 0xbf5db3d7, v15
	v_add_f32_e32 v15, v56, v23
	v_mad_u32_u24 v39, v21, s4, 0
	v_lshlrev_b32_sdwa v9, v9, v22 dst_sel:DWORD dst_unused:UNUSED_PAD src0_sel:DWORD src1_sel:BYTE_0
	v_add_f32_e32 v15, v15, v24
	v_add3_u32 v9, v39, v9, v1
	ds_write2_b32 v9, v15, v13 offset1:13
	ds_write_b32 v9, v16 offset:104
.LBB0_22:
	s_or_b64 exec, exec, s[2:3]
	v_add_f32_e32 v9, v20, v33
	v_add_f32_e32 v39, v9, v34
	;; [unrolled: 1-line block ×3, first 2 shown]
	v_fmac_f32_e32 v20, -0.5, v9
	v_sub_f32_e32 v9, v30, v31
	v_mov_b32_e32 v30, v20
	v_fmac_f32_e32 v30, 0x3f5db3d7, v9
	v_fmac_f32_e32 v20, 0xbf5db3d7, v9
	v_add_f32_e32 v9, v6, v14
	v_add_f32_e32 v31, v9, v32
	;; [unrolled: 1-line block ×3, first 2 shown]
	v_fma_f32 v32, -0.5, v9, v6
	v_sub_f32_e32 v6, v28, v29
	v_mov_b32_e32 v29, v32
	v_fmac_f32_e32 v29, 0x3f5db3d7, v6
	v_fmac_f32_e32 v32, 0xbf5db3d7, v6
	v_add_f32_e32 v6, v7, v11
	v_add_f32_e32 v33, v6, v12
	;; [unrolled: 1-line block ×3, first 2 shown]
	v_fmac_f32_e32 v7, -0.5, v6
	v_sub_f32_e32 v6, v19, v25
	v_mov_b32_e32 v34, v7
	v_fmac_f32_e32 v34, 0x3f5db3d7, v6
	v_fmac_f32_e32 v7, 0xbf5db3d7, v6
	v_add_f32_e32 v6, v4, v5
	v_add_f32_e32 v5, v5, v10
	v_fmac_f32_e32 v4, -0.5, v5
	v_sub_f32_e32 v5, v17, v18
	v_mov_b32_e32 v41, v4
	v_add_u32_e32 v19, 0x400, v68
	v_add_f32_e32 v40, v6, v10
	v_fmac_f32_e32 v41, 0x3f5db3d7, v5
	v_fmac_f32_e32 v4, 0xbf5db3d7, v5
	s_waitcnt lgkmcnt(0)
	s_barrier
	ds_read2_b32 v[5:6], v68 offset0:39 offset1:78
	ds_read2_b32 v[17:18], v68 offset0:117 offset1:156
	;; [unrolled: 1-line block ×6, first 2 shown]
	ds_read_b32 v25, v46
	ds_read_b32 v28, v68 offset:2028
	s_waitcnt lgkmcnt(0)
	s_barrier
	ds_write2_b32 v35, v39, v30 offset1:13
	ds_write_b32 v35, v20 offset:104
	ds_write2_b32 v36, v31, v29 offset1:13
	ds_write_b32 v36, v32 offset:104
	ds_write2_b32 v37, v33, v34 offset1:13
	ds_write_b32 v37, v7 offset:104
	ds_write2_b32 v38, v40, v41 offset1:13
	ds_write_b32 v38, v4 offset:104
	s_and_saveexec_b64 s[2:3], vcc
	s_cbranch_execz .LBB0_24
; %bb.23:
	v_add_f32_e32 v7, v26, v27
	v_add_f32_e32 v4, v8, v26
	v_fmac_f32_e32 v8, -0.5, v7
	v_sub_f32_e32 v7, v23, v24
	v_mov_b32_e32 v20, v8
	v_fmac_f32_e32 v20, 0x3f5db3d7, v7
	v_fmac_f32_e32 v8, 0xbf5db3d7, v7
	v_mad_u32_u24 v7, v21, s4, 0
	v_mov_b32_e32 v21, 2
	v_lshlrev_b32_sdwa v21, v21, v22 dst_sel:DWORD dst_unused:UNUSED_PAD src0_sel:DWORD src1_sel:BYTE_0
	v_add_f32_e32 v4, v4, v27
	v_add3_u32 v1, v7, v21, v1
	ds_write2_b32 v1, v4, v20 offset1:13
	ds_write_b32 v1, v8 offset:104
.LBB0_24:
	s_or_b64 exec, exec, s[2:3]
	v_mul_u32_u24_e32 v1, 6, v0
	v_lshlrev_b32_e32 v1, 3, v1
	s_waitcnt lgkmcnt(0)
	s_barrier
	global_load_dwordx4 v[20:23], v1, s[8:9] offset:208
	global_load_dwordx4 v[29:32], v1, s[8:9] offset:224
	;; [unrolled: 1-line block ×3, first 2 shown]
	ds_read2_b32 v[7:8], v68 offset0:39 offset1:78
	ds_read2_b32 v[26:27], v68 offset0:117 offset1:156
	;; [unrolled: 1-line block ×6, first 2 shown]
	ds_read_b32 v1, v46
	ds_read_b32 v4, v68 offset:2028
	s_mov_b32 s2, 0xbf5ff5aa
	s_mov_b32 s3, 0x3f3bfb3b
	;; [unrolled: 1-line block ×4, first 2 shown]
	s_waitcnt vmcnt(0) lgkmcnt(0)
	s_barrier
	v_mul_f32_e32 v24, v8, v21
	v_mul_f32_e32 v45, v6, v21
	;; [unrolled: 1-line block ×14, first 2 shown]
	v_fmac_f32_e32 v24, v6, v20
	v_fma_f32 v6, v8, v20, -v45
	v_fmac_f32_e32 v47, v18, v22
	v_fmac_f32_e32 v53, v12, v33
	;; [unrolled: 1-line block ×3, first 2 shown]
	v_fma_f32 v10, v44, v35, -v56
	v_mul_f32_e32 v58, v37, v23
	v_mul_f32_e32 v23, v13, v23
	v_fma_f32 v8, v27, v22, -v48
	v_fmac_f32_e32 v49, v14, v29
	v_fma_f32 v14, v38, v29, -v50
	v_fmac_f32_e32 v51, v16, v31
	v_fma_f32 v16, v40, v31, -v52
	v_fma_f32 v12, v42, v33, -v54
	v_fmac_f32_e32 v57, v17, v20
	v_fma_f32 v17, v26, v20, -v21
	v_add_f32_e32 v18, v24, v55
	v_add_f32_e32 v20, v6, v10
	v_sub_f32_e32 v6, v6, v10
	v_add_f32_e32 v10, v47, v53
	v_mul_f32_e32 v62, v4, v36
	v_fmac_f32_e32 v58, v13, v22
	v_fma_f32 v13, v37, v22, -v23
	v_sub_f32_e32 v21, v24, v55
	v_add_f32_e32 v22, v8, v12
	v_sub_f32_e32 v8, v8, v12
	v_add_f32_e32 v12, v49, v51
	v_add_f32_e32 v24, v14, v16
	v_sub_f32_e32 v14, v16, v14
	v_add_f32_e32 v16, v10, v18
	v_mul_f32_e32 v59, v39, v30
	v_mul_f32_e32 v30, v15, v30
	;; [unrolled: 1-line block ×3, first 2 shown]
	v_fmac_f32_e32 v62, v28, v35
	v_add_f32_e32 v27, v22, v20
	v_sub_f32_e32 v28, v10, v18
	v_sub_f32_e32 v18, v18, v12
	;; [unrolled: 1-line block ×3, first 2 shown]
	v_add_f32_e32 v12, v12, v16
	v_mul_f32_e32 v60, v41, v32
	v_mul_f32_e32 v32, v11, v32
	v_mul_f32_e32 v61, v43, v34
	v_mul_f32_e32 v34, v9, v34
	v_fmac_f32_e32 v59, v15, v29
	v_fma_f32 v15, v39, v29, -v30
	v_sub_f32_e32 v23, v47, v53
	v_sub_f32_e32 v26, v51, v49
	;; [unrolled: 1-line block ×5, first 2 shown]
	v_add_f32_e32 v16, v24, v27
	v_add_f32_e32 v24, v25, v12
	v_fmac_f32_e32 v60, v11, v31
	v_fma_f32 v11, v41, v31, -v32
	v_fmac_f32_e32 v61, v9, v33
	v_fma_f32 v9, v43, v33, -v34
	v_add_f32_e32 v30, v26, v23
	v_add_f32_e32 v31, v14, v8
	v_sub_f32_e32 v32, v26, v23
	v_sub_f32_e32 v33, v14, v8
	;; [unrolled: 1-line block ×3, first 2 shown]
	v_add_f32_e32 v1, v1, v16
	v_mov_b32_e32 v34, v24
	v_sub_f32_e32 v26, v21, v26
	v_sub_f32_e32 v14, v6, v14
	;; [unrolled: 1-line block ×3, first 2 shown]
	v_add_f32_e32 v21, v30, v21
	v_add_f32_e32 v6, v31, v6
	v_mul_f32_e32 v18, 0x3f4a47b2, v18
	v_mul_f32_e32 v20, 0x3f4a47b2, v20
	v_mul_f32_e32 v25, 0x3d64c772, v10
	v_mul_f32_e32 v27, 0x3d64c772, v22
	v_mul_f32_e32 v30, 0x3f08b237, v32
	v_mul_f32_e32 v31, 0x3f08b237, v33
	v_mul_f32_e32 v32, 0xbf5ff5aa, v23
	v_fmac_f32_e32 v34, 0xbf955555, v12
	v_mov_b32_e32 v12, v1
	v_mul_f32_e32 v33, 0xbf5ff5aa, v8
	v_fmac_f32_e32 v12, 0xbf955555, v16
	v_fma_f32 v16, v28, s3, -v25
	v_fma_f32 v25, v29, s3, -v27
	;; [unrolled: 1-line block ×3, first 2 shown]
	v_fmac_f32_e32 v18, 0x3d64c772, v10
	v_fma_f32 v10, v29, s4, -v20
	v_fmac_f32_e32 v20, 0x3d64c772, v22
	v_fma_f32 v22, v23, s2, -v30
	;; [unrolled: 2-line block ×4, first 2 shown]
	v_fma_f32 v4, v4, v35, -v36
	v_fma_f32 v14, v14, s5, -v33
	v_add_f32_e32 v18, v18, v34
	v_add_f32_e32 v20, v20, v12
	;; [unrolled: 1-line block ×4, first 2 shown]
	v_fmac_f32_e32 v30, 0xbee1c552, v21
	v_fmac_f32_e32 v31, 0xbee1c552, v6
	v_fmac_f32_e32 v8, 0xbee1c552, v6
	v_fmac_f32_e32 v23, 0xbee1c552, v21
	v_add_f32_e32 v26, v27, v34
	v_fmac_f32_e32 v22, 0xbee1c552, v21
	v_fmac_f32_e32 v14, 0xbee1c552, v6
	v_add_f32_e32 v6, v31, v18
	v_sub_f32_e32 v21, v20, v30
	v_sub_f32_e32 v27, v10, v23
	v_sub_f32_e32 v28, v16, v8
	v_add_f32_e32 v8, v8, v16
	v_add_f32_e32 v23, v23, v10
	v_sub_f32_e32 v10, v18, v31
	v_add_f32_e32 v18, v30, v20
	v_add_f32_e32 v16, v57, v62
	v_add_f32_e32 v20, v17, v4
	v_sub_f32_e32 v4, v17, v4
	v_add_f32_e32 v17, v58, v61
	v_add_f32_e32 v25, v25, v12
	v_add_f32_e32 v12, v14, v26
	v_sub_f32_e32 v14, v26, v14
	v_add_f32_e32 v26, v13, v9
	v_sub_f32_e32 v9, v13, v9
	v_add_f32_e32 v13, v59, v60
	v_add_f32_e32 v31, v15, v11
	v_sub_f32_e32 v11, v11, v15
	v_add_f32_e32 v15, v17, v16
	v_add_f32_e32 v33, v26, v20
	v_sub_f32_e32 v34, v17, v16
	v_sub_f32_e32 v16, v16, v13
	;; [unrolled: 1-line block ×3, first 2 shown]
	v_add_f32_e32 v13, v13, v15
	v_add_f32_e32 v15, v31, v33
	;; [unrolled: 1-line block ×4, first 2 shown]
	v_sub_f32_e32 v22, v25, v22
	v_sub_f32_e32 v25, v57, v62
	;; [unrolled: 1-line block ×7, first 2 shown]
	v_add_f32_e32 v37, v11, v9
	v_sub_f32_e32 v39, v11, v9
	v_sub_f32_e32 v9, v9, v4
	v_add_f32_e32 v31, v7, v15
	v_mov_b32_e32 v40, v5
	v_add_f32_e32 v36, v32, v30
	v_sub_f32_e32 v38, v32, v30
	v_sub_f32_e32 v11, v4, v11
	;; [unrolled: 1-line block ×3, first 2 shown]
	v_add_f32_e32 v4, v37, v4
	v_mul_f32_e32 v7, 0x3f4a47b2, v16
	v_mul_f32_e32 v16, 0x3f4a47b2, v20
	;; [unrolled: 1-line block ×6, first 2 shown]
	v_fmac_f32_e32 v40, 0xbf955555, v13
	v_mov_b32_e32 v13, v31
	v_sub_f32_e32 v32, v25, v32
	v_add_f32_e32 v25, v36, v25
	v_mul_f32_e32 v36, 0x3f08b237, v38
	v_mul_f32_e32 v38, 0xbf5ff5aa, v30
	v_fmac_f32_e32 v13, 0xbf955555, v15
	v_fma_f32 v15, v34, s3, -v20
	v_fma_f32 v20, v35, s3, -v33
	;; [unrolled: 1-line block ×3, first 2 shown]
	v_fmac_f32_e32 v7, 0x3d64c772, v17
	v_fma_f32 v9, v9, s2, -v37
	v_fmac_f32_e32 v37, 0xbeae86e6, v11
	v_fma_f32 v11, v11, s5, -v39
	v_fma_f32 v17, v35, s4, -v16
	v_fmac_f32_e32 v16, 0x3d64c772, v26
	v_fma_f32 v26, v30, s2, -v36
	v_fmac_f32_e32 v36, 0xbeae86e6, v32
	v_fma_f32 v30, v32, s5, -v38
	v_add_f32_e32 v7, v7, v40
	v_add_f32_e32 v15, v15, v40
	v_add_f32_e32 v32, v33, v40
	v_fmac_f32_e32 v37, 0xbee1c552, v4
	v_fmac_f32_e32 v9, 0xbee1c552, v4
	;; [unrolled: 1-line block ×3, first 2 shown]
	v_add_f32_e32 v16, v16, v13
	v_add_f32_e32 v20, v20, v13
	;; [unrolled: 1-line block ×3, first 2 shown]
	v_fmac_f32_e32 v36, 0xbee1c552, v25
	v_fmac_f32_e32 v26, 0xbee1c552, v25
	;; [unrolled: 1-line block ×3, first 2 shown]
	v_add_f32_e32 v4, v37, v7
	v_add_f32_e32 v17, v11, v32
	v_sub_f32_e32 v34, v15, v9
	v_add_f32_e32 v9, v9, v15
	v_sub_f32_e32 v11, v32, v11
	v_sub_f32_e32 v7, v7, v37
	ds_write2_b32 v68, v24, v6 offset1:39
	ds_write2_b32 v68, v12, v28 offset0:78 offset1:117
	ds_write2_b32 v68, v8, v14 offset0:156 offset1:195
	v_add_u32_e32 v24, 0x200, v68
	v_sub_f32_e32 v25, v16, v36
	v_sub_f32_e32 v33, v13, v30
	v_add_f32_e32 v35, v26, v20
	v_sub_f32_e32 v20, v20, v26
	v_add_f32_e32 v26, v30, v13
	v_add_f32_e32 v30, v36, v16
	ds_write2_b32 v24, v10, v5 offset0:106 offset1:145
	ds_write2_b32 v19, v4, v17 offset0:56 offset1:95
	;; [unrolled: 1-line block ×4, first 2 shown]
	s_waitcnt lgkmcnt(0)
	s_barrier
	ds_read2_b32 v[10:11], v19 offset0:17 offset1:56
	ds_read2_b32 v[4:5], v68 offset0:39 offset1:78
	;; [unrolled: 1-line block ×6, first 2 shown]
	ds_read_b32 v16, v46
	ds_read_b32 v17, v68 offset:2028
	s_waitcnt lgkmcnt(0)
	s_barrier
	ds_write2_b32 v68, v1, v21 offset1:39
	ds_write2_b32 v68, v27, v29 offset0:78 offset1:117
	ds_write2_b32 v68, v22, v23 offset0:156 offset1:195
	;; [unrolled: 1-line block ×6, first 2 shown]
	s_waitcnt lgkmcnt(0)
	s_barrier
	s_and_saveexec_b64 s[2:3], s[0:1]
	s_cbranch_execz .LBB0_26
; %bb.25:
	v_mov_b32_e32 v1, 0
	v_lshlrev_b64 v[18:19], 3, v[0:1]
	v_mov_b32_e32 v21, s9
	v_add_co_u32_e32 v20, vcc, s8, v18
	v_addc_co_u32_e32 v21, vcc, v21, v19, vcc
	global_load_dwordx2 v[22:23], v[20:21], off offset:3952
	global_load_dwordx2 v[24:25], v[20:21], off offset:3640
	global_load_dwordx2 v[26:27], v[20:21], off offset:3328
	global_load_dwordx2 v[28:29], v[20:21], off offset:3016
	global_load_dwordx2 v[30:31], v[20:21], off offset:2704
	global_load_dwordx2 v[32:33], v[20:21], off offset:2392
	global_load_dwordx2 v[34:35], v[20:21], off offset:2080
	v_add_u32_e32 v44, 0x400, v68
	ds_read2_b32 v[20:21], v68 offset0:195 offset1:234
	ds_read2_b32 v[36:37], v68 offset0:117 offset1:156
	;; [unrolled: 1-line block ×3, first 2 shown]
	ds_read_b32 v47, v68 offset:2028
	ds_read_b32 v46, v46
	ds_read2_b32 v[40:41], v44 offset0:173 offset1:212
	ds_read2_b32 v[42:43], v44 offset0:95 offset1:134
	ds_read2_b32 v[44:45], v44 offset0:17 offset1:56
	v_mov_b32_e32 v48, s13
	v_add_co_u32_e32 v2, vcc, s12, v2
	v_addc_co_u32_e32 v3, vcc, v48, v3, vcc
	v_add_co_u32_e32 v2, vcc, v2, v18
	v_addc_co_u32_e32 v3, vcc, v3, v19, vcc
	s_mov_b32 s0, 0xe01e01e1
	s_waitcnt vmcnt(6)
	v_mul_f32_e32 v18, v17, v23
	s_waitcnt lgkmcnt(4)
	v_mul_f32_e32 v19, v47, v23
	s_waitcnt vmcnt(5)
	v_mul_f32_e32 v23, v15, v25
	s_waitcnt lgkmcnt(2)
	v_mul_f32_e32 v25, v41, v25
	s_waitcnt vmcnt(4)
	v_mul_f32_e32 v48, v14, v27
	v_mul_f32_e32 v27, v40, v27
	s_waitcnt vmcnt(1)
	v_mul_f32_e32 v51, v11, v33
	s_waitcnt lgkmcnt(0)
	v_mul_f32_e32 v33, v45, v33
	s_waitcnt vmcnt(0)
	v_mul_f32_e32 v52, v10, v35
	v_mul_f32_e32 v35, v44, v35
	;; [unrolled: 1-line block ×6, first 2 shown]
	v_fmac_f32_e32 v19, v17, v22
	v_fma_f32 v17, v41, v24, -v23
	v_fmac_f32_e32 v25, v15, v24
	v_fma_f32 v15, v40, v26, -v48
	;; [unrolled: 2-line block ×5, first 2 shown]
	v_fma_f32 v22, v43, v28, -v49
	v_fmac_f32_e32 v29, v13, v28
	v_fma_f32 v23, v42, v30, -v50
	v_fmac_f32_e32 v31, v12, v30
	v_sub_f32_e32 v12, v8, v25
	v_sub_f32_e32 v14, v7, v27
	;; [unrolled: 1-line block ×12, first 2 shown]
	v_fma_f32 v4, v4, 2.0, -v24
	v_fma_f32 v33, v46, 2.0, -v27
	;; [unrolled: 1-line block ×3, first 2 shown]
	v_sub_f32_e32 v10, v9, v19
	v_fma_f32 v19, v7, 2.0, -v14
	v_fma_f32 v7, v36, 2.0, -v18
	;; [unrolled: 1-line block ×6, first 2 shown]
	global_store_dwordx2 v[2:3], v[32:33], off
	global_store_dwordx2 v[2:3], v[26:27], off offset:2184
	global_store_dwordx2 v[2:3], v[4:5], off offset:312
	global_store_dwordx2 v[2:3], v[24:25], off offset:2496
	global_store_dwordx2 v[2:3], v[30:31], off offset:624
	global_store_dwordx2 v[2:3], v[22:23], off offset:2808
	global_store_dwordx2 v[2:3], v[6:7], off offset:936
	v_add_u32_e32 v4, 0xc3, v0
	v_mul_hi_u32 v5, v4, s0
	v_add_u32_e32 v0, 0xea, v0
	v_mul_hi_u32 v6, v0, s0
	v_sub_f32_e32 v15, v37, v15
	v_sub_u32_e32 v4, v4, v5
	v_lshrrev_b32_e32 v4, 1, v4
	v_add_u32_e32 v4, v4, v5
	v_sub_u32_e32 v0, v0, v6
	v_lshrrev_b32_e32 v4, 8, v4
	v_lshrrev_b32_e32 v0, 1, v0
	v_mul_u32_u24_e32 v4, 0x111, v4
	v_mov_b32_e32 v5, v1
	v_add_u32_e32 v0, v0, v6
	v_lshlrev_b64 v[4:5], 3, v[4:5]
	v_lshrrev_b32_e32 v0, 8, v0
	v_mul_u32_u24_e32 v0, 0x111, v0
	v_add_co_u32_e32 v4, vcc, v2, v4
	v_lshlrev_b64 v[0:1], 3, v[0:1]
	v_addc_co_u32_e32 v5, vcc, v3, v5, vcc
	v_add_co_u32_e32 v0, vcc, v2, v0
	v_fma_f32 v29, v21, 2.0, -v11
	v_fma_f32 v28, v9, 2.0, -v10
	v_fma_f32 v9, v20, 2.0, -v13
	v_fma_f32 v8, v8, 2.0, -v12
	v_addc_co_u32_e32 v1, vcc, v3, v1, vcc
	v_fma_f32 v20, v37, 2.0, -v15
	global_store_dwordx2 v[2:3], v[17:18], off offset:3120
	global_store_dwordx2 v[2:3], v[19:20], off offset:1248
	;; [unrolled: 1-line block ×7, first 2 shown]
.LBB0_26:
	s_endpgm
	.section	.rodata,"a",@progbits
	.p2align	6, 0x0
	.amdhsa_kernel fft_rtc_back_len546_factors_13_3_7_2_wgs_117_tpt_39_halfLds_sp_ip_CI_unitstride_sbrr_dirReg
		.amdhsa_group_segment_fixed_size 0
		.amdhsa_private_segment_fixed_size 0
		.amdhsa_kernarg_size 88
		.amdhsa_user_sgpr_count 6
		.amdhsa_user_sgpr_private_segment_buffer 1
		.amdhsa_user_sgpr_dispatch_ptr 0
		.amdhsa_user_sgpr_queue_ptr 0
		.amdhsa_user_sgpr_kernarg_segment_ptr 1
		.amdhsa_user_sgpr_dispatch_id 0
		.amdhsa_user_sgpr_flat_scratch_init 0
		.amdhsa_user_sgpr_private_segment_size 0
		.amdhsa_uses_dynamic_stack 0
		.amdhsa_system_sgpr_private_segment_wavefront_offset 0
		.amdhsa_system_sgpr_workgroup_id_x 1
		.amdhsa_system_sgpr_workgroup_id_y 0
		.amdhsa_system_sgpr_workgroup_id_z 0
		.amdhsa_system_sgpr_workgroup_info 0
		.amdhsa_system_vgpr_workitem_id 0
		.amdhsa_next_free_vgpr 102
		.amdhsa_next_free_sgpr 22
		.amdhsa_reserve_vcc 1
		.amdhsa_reserve_flat_scratch 0
		.amdhsa_float_round_mode_32 0
		.amdhsa_float_round_mode_16_64 0
		.amdhsa_float_denorm_mode_32 3
		.amdhsa_float_denorm_mode_16_64 3
		.amdhsa_dx10_clamp 1
		.amdhsa_ieee_mode 1
		.amdhsa_fp16_overflow 0
		.amdhsa_exception_fp_ieee_invalid_op 0
		.amdhsa_exception_fp_denorm_src 0
		.amdhsa_exception_fp_ieee_div_zero 0
		.amdhsa_exception_fp_ieee_overflow 0
		.amdhsa_exception_fp_ieee_underflow 0
		.amdhsa_exception_fp_ieee_inexact 0
		.amdhsa_exception_int_div_zero 0
	.end_amdhsa_kernel
	.text
.Lfunc_end0:
	.size	fft_rtc_back_len546_factors_13_3_7_2_wgs_117_tpt_39_halfLds_sp_ip_CI_unitstride_sbrr_dirReg, .Lfunc_end0-fft_rtc_back_len546_factors_13_3_7_2_wgs_117_tpt_39_halfLds_sp_ip_CI_unitstride_sbrr_dirReg
                                        ; -- End function
	.section	.AMDGPU.csdata,"",@progbits
; Kernel info:
; codeLenInByte = 10976
; NumSgprs: 26
; NumVgprs: 102
; ScratchSize: 0
; MemoryBound: 0
; FloatMode: 240
; IeeeMode: 1
; LDSByteSize: 0 bytes/workgroup (compile time only)
; SGPRBlocks: 3
; VGPRBlocks: 25
; NumSGPRsForWavesPerEU: 26
; NumVGPRsForWavesPerEU: 102
; Occupancy: 2
; WaveLimiterHint : 1
; COMPUTE_PGM_RSRC2:SCRATCH_EN: 0
; COMPUTE_PGM_RSRC2:USER_SGPR: 6
; COMPUTE_PGM_RSRC2:TRAP_HANDLER: 0
; COMPUTE_PGM_RSRC2:TGID_X_EN: 1
; COMPUTE_PGM_RSRC2:TGID_Y_EN: 0
; COMPUTE_PGM_RSRC2:TGID_Z_EN: 0
; COMPUTE_PGM_RSRC2:TIDIG_COMP_CNT: 0
	.type	__hip_cuid_601f05f5d65bd99f,@object ; @__hip_cuid_601f05f5d65bd99f
	.section	.bss,"aw",@nobits
	.globl	__hip_cuid_601f05f5d65bd99f
__hip_cuid_601f05f5d65bd99f:
	.byte	0                               ; 0x0
	.size	__hip_cuid_601f05f5d65bd99f, 1

	.ident	"AMD clang version 19.0.0git (https://github.com/RadeonOpenCompute/llvm-project roc-6.4.0 25133 c7fe45cf4b819c5991fe208aaa96edf142730f1d)"
	.section	".note.GNU-stack","",@progbits
	.addrsig
	.addrsig_sym __hip_cuid_601f05f5d65bd99f
	.amdgpu_metadata
---
amdhsa.kernels:
  - .args:
      - .actual_access:  read_only
        .address_space:  global
        .offset:         0
        .size:           8
        .value_kind:     global_buffer
      - .offset:         8
        .size:           8
        .value_kind:     by_value
      - .actual_access:  read_only
        .address_space:  global
        .offset:         16
        .size:           8
        .value_kind:     global_buffer
      - .actual_access:  read_only
        .address_space:  global
        .offset:         24
        .size:           8
        .value_kind:     global_buffer
      - .offset:         32
        .size:           8
        .value_kind:     by_value
      - .actual_access:  read_only
        .address_space:  global
        .offset:         40
        .size:           8
        .value_kind:     global_buffer
      - .actual_access:  read_only
        .address_space:  global
        .offset:         48
        .size:           8
        .value_kind:     global_buffer
      - .offset:         56
        .size:           4
        .value_kind:     by_value
      - .actual_access:  read_only
        .address_space:  global
        .offset:         64
        .size:           8
        .value_kind:     global_buffer
      - .actual_access:  read_only
        .address_space:  global
        .offset:         72
        .size:           8
        .value_kind:     global_buffer
      - .address_space:  global
        .offset:         80
        .size:           8
        .value_kind:     global_buffer
    .group_segment_fixed_size: 0
    .kernarg_segment_align: 8
    .kernarg_segment_size: 88
    .language:       OpenCL C
    .language_version:
      - 2
      - 0
    .max_flat_workgroup_size: 117
    .name:           fft_rtc_back_len546_factors_13_3_7_2_wgs_117_tpt_39_halfLds_sp_ip_CI_unitstride_sbrr_dirReg
    .private_segment_fixed_size: 0
    .sgpr_count:     26
    .sgpr_spill_count: 0
    .symbol:         fft_rtc_back_len546_factors_13_3_7_2_wgs_117_tpt_39_halfLds_sp_ip_CI_unitstride_sbrr_dirReg.kd
    .uniform_work_group_size: 1
    .uses_dynamic_stack: false
    .vgpr_count:     102
    .vgpr_spill_count: 0
    .wavefront_size: 64
amdhsa.target:   amdgcn-amd-amdhsa--gfx906
amdhsa.version:
  - 1
  - 2
...

	.end_amdgpu_metadata
